;; amdgpu-corpus repo=ROCm/rocFFT kind=compiled arch=gfx906 opt=O3
	.text
	.amdgcn_target "amdgcn-amd-amdhsa--gfx906"
	.amdhsa_code_object_version 6
	.protected	bluestein_single_fwd_len1122_dim1_half_op_CI_CI ; -- Begin function bluestein_single_fwd_len1122_dim1_half_op_CI_CI
	.globl	bluestein_single_fwd_len1122_dim1_half_op_CI_CI
	.p2align	8
	.type	bluestein_single_fwd_len1122_dim1_half_op_CI_CI,@function
bluestein_single_fwd_len1122_dim1_half_op_CI_CI: ; @bluestein_single_fwd_len1122_dim1_half_op_CI_CI
; %bb.0:
	s_load_dwordx4 s[0:3], s[4:5], 0x28
	v_mul_u32_u24_e32 v1, 0x283, v0
	v_lshrrev_b32_e32 v1, 16, v1
	v_lshl_add_u32 v16, s6, 1, v1
	v_mov_b32_e32 v17, 0
	s_waitcnt lgkmcnt(0)
	v_cmp_gt_u64_e32 vcc, s[0:1], v[16:17]
	s_and_saveexec_b64 s[0:1], vcc
	s_cbranch_execz .LBB0_23
; %bb.1:
	s_load_dwordx2 s[6:7], s[4:5], 0x0
	s_load_dwordx2 s[12:13], s[4:5], 0x38
	v_mul_lo_u16_e32 v2, 0x66, v1
	v_sub_u16_e32 v37, v0, v2
	v_and_b32_e32 v0, 1, v1
	v_mov_b32_e32 v1, 0x462
	v_cmp_eq_u32_e32 vcc, 1, v0
	v_cndmask_b32_e32 v29, 0, v1, vcc
	s_movk_i32 s0, 0x42
	v_cmp_gt_u16_e64 s[0:1], s0, v37
	v_lshlrev_b32_e32 v36, 2, v37
	v_lshlrev_b32_e32 v39, 2, v29
	s_and_saveexec_b64 s[8:9], s[0:1]
	s_cbranch_execz .LBB0_3
; %bb.2:
	s_load_dwordx2 s[10:11], s[4:5], 0x18
	v_lshl_add_u32 v14, v37, 2, v39
	v_add_u32_e32 v15, v39, v36
	v_add_u32_e32 v20, 0x200, v15
	s_waitcnt lgkmcnt(0)
	s_load_dwordx4 s[16:19], s[10:11], 0x0
	s_waitcnt lgkmcnt(0)
	v_mad_u64_u32 v[0:1], s[10:11], s18, v16, 0
	v_mad_u64_u32 v[2:3], s[10:11], s16, v37, 0
	;; [unrolled: 1-line block ×4, first 2 shown]
	v_mov_b32_e32 v1, v4
	v_lshlrev_b64 v[0:1], 2, v[0:1]
	v_mov_b32_e32 v3, v5
	v_mov_b32_e32 v6, s3
	v_lshlrev_b64 v[2:3], 2, v[2:3]
	v_add_co_u32_e32 v0, vcc, s2, v0
	v_addc_co_u32_e32 v1, vcc, v6, v1, vcc
	v_add_co_u32_e32 v0, vcc, v0, v2
	s_mul_i32 s2, s17, 0x108
	s_mul_hi_u32 s3, s16, 0x108
	v_addc_co_u32_e32 v1, vcc, v1, v3, vcc
	s_add_i32 s3, s3, s2
	s_mul_i32 s2, s16, 0x108
	v_mov_b32_e32 v3, s3
	v_add_co_u32_e32 v2, vcc, s2, v0
	v_addc_co_u32_e32 v3, vcc, v1, v3, vcc
	global_load_dword v4, v[0:1], off
	global_load_dword v5, v[2:3], off
	global_load_dword v6, v36, s[6:7]
	global_load_dword v7, v36, s[6:7] offset:264
	v_mov_b32_e32 v1, s3
	v_add_co_u32_e32 v0, vcc, s2, v2
	v_addc_co_u32_e32 v1, vcc, v3, v1, vcc
	global_load_dword v8, v[0:1], off
	global_load_dword v9, v36, s[6:7] offset:528
	v_mov_b32_e32 v2, s3
	v_add_co_u32_e32 v0, vcc, s2, v0
	v_addc_co_u32_e32 v1, vcc, v1, v2, vcc
	global_load_dword v10, v[0:1], off
	global_load_dword v11, v36, s[6:7] offset:792
	v_add_co_u32_e32 v0, vcc, s2, v0
	v_addc_co_u32_e32 v1, vcc, v1, v2, vcc
	global_load_dword v12, v[0:1], off
	global_load_dword v13, v36, s[6:7] offset:1056
	v_mov_b32_e32 v2, s7
	v_add_co_u32_e32 v3, vcc, s6, v36
	v_addc_co_u32_e32 v19, vcc, 0, v2, vcc
	v_add_co_u32_e32 v2, vcc, 0x1000, v3
	v_addc_co_u32_e32 v3, vcc, 0, v19, vcc
	global_load_dword v17, v36, s[6:7] offset:1320
	global_load_dword v18, v36, s[6:7] offset:1584
	v_add_co_u32_e32 v0, vcc, s2, v0
	global_load_dword v2, v[2:3], off offset:128
	v_mov_b32_e32 v3, s3
	v_addc_co_u32_e32 v1, vcc, v1, v3, vcc
	global_load_dword v3, v[0:1], off
	v_mov_b32_e32 v19, s3
	v_add_co_u32_e32 v0, vcc, s2, v0
	v_addc_co_u32_e32 v1, vcc, v1, v19, vcc
	v_mov_b32_e32 v27, s3
	v_mov_b32_e32 v28, s3
	;; [unrolled: 1-line block ×3, first 2 shown]
	s_waitcnt vmcnt(13)
	v_lshrrev_b32_e32 v21, 16, v4
	s_waitcnt vmcnt(11)
	v_mul_f16_sdwa v22, v6, v4 dst_sel:DWORD dst_unused:UNUSED_PAD src0_sel:WORD_1 src1_sel:DWORD
	v_mul_f16_sdwa v23, v6, v21 dst_sel:DWORD dst_unused:UNUSED_PAD src0_sel:WORD_1 src1_sel:DWORD
	v_fma_f16 v21, v6, v21, -v22
	v_lshrrev_b32_e32 v22, 16, v5
	s_waitcnt vmcnt(10)
	v_mul_f16_sdwa v24, v7, v5 dst_sel:DWORD dst_unused:UNUSED_PAD src0_sel:WORD_1 src1_sel:DWORD
	v_fma_f16 v4, v6, v4, v23
	v_mul_f16_sdwa v6, v7, v22 dst_sel:DWORD dst_unused:UNUSED_PAD src0_sel:WORD_1 src1_sel:DWORD
	s_waitcnt vmcnt(9)
	v_lshrrev_b32_e32 v23, 16, v8
	v_fma_f16 v22, v7, v22, -v24
	s_waitcnt vmcnt(8)
	v_mul_f16_sdwa v24, v9, v8 dst_sel:DWORD dst_unused:UNUSED_PAD src0_sel:WORD_1 src1_sel:DWORD
	v_pack_b32_f16 v4, v4, v21
	v_fma_f16 v5, v7, v5, v6
	v_mul_f16_sdwa v6, v9, v23 dst_sel:DWORD dst_unused:UNUSED_PAD src0_sel:WORD_1 src1_sel:DWORD
	s_waitcnt vmcnt(7)
	v_lshrrev_b32_e32 v21, 16, v10
	v_fma_f16 v7, v9, v23, -v24
	s_waitcnt vmcnt(6)
	v_mul_f16_sdwa v23, v11, v10 dst_sel:DWORD dst_unused:UNUSED_PAD src0_sel:WORD_1 src1_sel:DWORD
	ds_write_b32 v14, v4
	v_pack_b32_f16 v4, v5, v22
	v_fma_f16 v5, v9, v8, v6
	v_mul_f16_sdwa v6, v11, v21 dst_sel:DWORD dst_unused:UNUSED_PAD src0_sel:WORD_1 src1_sel:DWORD
	v_fma_f16 v8, v11, v21, -v23
	v_fma_f16 v6, v11, v10, v6
	v_pack_b32_f16 v6, v6, v8
	global_load_dword v8, v[0:1], off
	v_mov_b32_e32 v10, s3
	v_add_co_u32_e32 v0, vcc, s2, v0
	s_waitcnt vmcnt(6)
	v_lshrrev_b32_e32 v9, 16, v12
	v_addc_co_u32_e32 v1, vcc, v1, v10, vcc
	v_pack_b32_f16 v5, v5, v7
	s_waitcnt vmcnt(5)
	v_mul_f16_sdwa v7, v13, v9 dst_sel:DWORD dst_unused:UNUSED_PAD src0_sel:WORD_1 src1_sel:DWORD
	global_load_dword v10, v[0:1], off
	v_mul_f16_sdwa v14, v13, v12 dst_sel:DWORD dst_unused:UNUSED_PAD src0_sel:WORD_1 src1_sel:DWORD
	v_fma_f16 v7, v13, v12, v7
	global_load_dword v12, v36, s[6:7] offset:1848
	v_mov_b32_e32 v11, s3
	v_add_co_u32_e32 v0, vcc, s2, v0
	v_addc_co_u32_e32 v1, vcc, v1, v11, vcc
	v_fma_f16 v9, v13, v9, -v14
	global_load_dword v11, v[0:1], off
	global_load_dword v13, v36, s[6:7] offset:2112
	v_mov_b32_e32 v14, s3
	v_add_co_u32_e32 v0, vcc, s2, v0
	v_addc_co_u32_e32 v1, vcc, v1, v14, vcc
	global_load_dword v14, v[0:1], off
	global_load_dword v19, v36, s[6:7] offset:2376
	v_mov_b32_e32 v21, s3
	v_add_co_u32_e32 v0, vcc, s2, v0
	v_addc_co_u32_e32 v1, vcc, v1, v21, vcc
	;; [unrolled: 5-line block ×4, first 2 shown]
	global_load_dword v24, v[0:1], off
	global_load_dword v26, v36, s[6:7] offset:3168
	v_add_co_u32_e32 v0, vcc, s2, v0
	v_addc_co_u32_e32 v1, vcc, v1, v27, vcc
	global_load_dword v27, v[0:1], off
	global_load_dword v30, v36, s[6:7] offset:3432
	v_add_co_u32_e32 v0, vcc, s2, v0
	v_addc_co_u32_e32 v1, vcc, v1, v28, vcc
	;; [unrolled: 4-line block ×4, first 2 shown]
	global_load_dword v0, v[0:1], off
	v_pack_b32_f16 v1, v7, v9
	ds_write2_b32 v20, v6, v1 offset0:70 offset1:136
	ds_write2_b32 v15, v4, v5 offset0:66 offset1:132
	s_waitcnt vmcnt(20)
	v_lshrrev_b32_e32 v1, 16, v3
	v_mul_f16_sdwa v4, v17, v1 dst_sel:DWORD dst_unused:UNUSED_PAD src0_sel:WORD_1 src1_sel:DWORD
	v_fma_f16 v4, v17, v3, v4
	v_mul_f16_sdwa v3, v17, v3 dst_sel:DWORD dst_unused:UNUSED_PAD src0_sel:WORD_1 src1_sel:DWORD
	v_fma_f16 v1, v17, v1, -v3
	v_pack_b32_f16 v1, v4, v1
	s_waitcnt vmcnt(19)
	v_lshrrev_b32_e32 v3, 16, v8
	v_mul_f16_sdwa v4, v18, v3 dst_sel:DWORD dst_unused:UNUSED_PAD src0_sel:WORD_1 src1_sel:DWORD
	v_mul_f16_sdwa v5, v18, v8 dst_sel:DWORD dst_unused:UNUSED_PAD src0_sel:WORD_1 src1_sel:DWORD
	v_fma_f16 v4, v18, v8, v4
	v_fma_f16 v3, v18, v3, -v5
	v_pack_b32_f16 v3, v4, v3
	v_add_u32_e32 v4, 0x400, v15
	ds_write2_b32 v4, v1, v3 offset0:74 offset1:140
	s_waitcnt vmcnt(18)
	v_lshrrev_b32_e32 v1, 16, v10
	s_waitcnt vmcnt(17)
	v_mul_f16_sdwa v3, v12, v1 dst_sel:DWORD dst_unused:UNUSED_PAD src0_sel:WORD_1 src1_sel:DWORD
	v_mul_f16_sdwa v4, v12, v10 dst_sel:DWORD dst_unused:UNUSED_PAD src0_sel:WORD_1 src1_sel:DWORD
	v_fma_f16 v3, v12, v10, v3
	v_fma_f16 v1, v12, v1, -v4
	v_pack_b32_f16 v1, v3, v1
	s_waitcnt vmcnt(16)
	v_lshrrev_b32_e32 v3, 16, v11
	s_waitcnt vmcnt(15)
	v_mul_f16_sdwa v4, v13, v3 dst_sel:DWORD dst_unused:UNUSED_PAD src0_sel:WORD_1 src1_sel:DWORD
	v_mul_f16_sdwa v5, v13, v11 dst_sel:DWORD dst_unused:UNUSED_PAD src0_sel:WORD_1 src1_sel:DWORD
	v_fma_f16 v4, v13, v11, v4
	v_fma_f16 v3, v13, v3, -v5
	v_pack_b32_f16 v3, v4, v3
	v_add_u32_e32 v4, 0x600, v15
	ds_write2_b32 v4, v1, v3 offset0:78 offset1:144
	s_waitcnt vmcnt(14)
	v_lshrrev_b32_e32 v1, 16, v14
	s_waitcnt vmcnt(13)
	v_mul_f16_sdwa v3, v19, v1 dst_sel:DWORD dst_unused:UNUSED_PAD src0_sel:WORD_1 src1_sel:DWORD
	v_mul_f16_sdwa v4, v19, v14 dst_sel:DWORD dst_unused:UNUSED_PAD src0_sel:WORD_1 src1_sel:DWORD
	v_fma_f16 v3, v19, v14, v3
	v_fma_f16 v1, v19, v1, -v4
	v_pack_b32_f16 v1, v3, v1
	s_waitcnt vmcnt(12)
	v_lshrrev_b32_e32 v3, 16, v21
	s_waitcnt vmcnt(11)
	;; [unrolled: 18-line block ×4, first 2 shown]
	v_mul_f16_sdwa v4, v31, v3 dst_sel:DWORD dst_unused:UNUSED_PAD src0_sel:WORD_1 src1_sel:DWORD
	v_mul_f16_sdwa v5, v31, v28 dst_sel:DWORD dst_unused:UNUSED_PAD src0_sel:WORD_1 src1_sel:DWORD
	v_fma_f16 v4, v31, v28, v4
	v_fma_f16 v3, v31, v3, -v5
	v_pack_b32_f16 v3, v4, v3
	v_add_u32_e32 v4, 0xc00, v15
	ds_write2_b32 v4, v1, v3 offset0:90 offset1:156
	s_waitcnt vmcnt(2)
	v_lshrrev_b32_e32 v1, 16, v33
	s_waitcnt vmcnt(1)
	v_mul_f16_sdwa v3, v34, v1 dst_sel:DWORD dst_unused:UNUSED_PAD src0_sel:WORD_1 src1_sel:DWORD
	v_mul_f16_sdwa v4, v34, v33 dst_sel:DWORD dst_unused:UNUSED_PAD src0_sel:WORD_1 src1_sel:DWORD
	v_fma_f16 v3, v34, v33, v3
	v_fma_f16 v1, v34, v1, -v4
	v_pack_b32_f16 v1, v3, v1
	s_waitcnt vmcnt(0)
	v_lshrrev_b32_e32 v3, 16, v0
	v_mul_f16_sdwa v4, v2, v3 dst_sel:DWORD dst_unused:UNUSED_PAD src0_sel:WORD_1 src1_sel:DWORD
	v_fma_f16 v4, v2, v0, v4
	v_mul_f16_sdwa v0, v2, v0 dst_sel:DWORD dst_unused:UNUSED_PAD src0_sel:WORD_1 src1_sel:DWORD
	v_fma_f16 v0, v2, v3, -v0
	v_pack_b32_f16 v0, v4, v0
	v_add_u32_e32 v2, 0xe00, v15
	ds_write2_b32 v2, v1, v0 offset0:94 offset1:160
.LBB0_3:
	s_or_b64 exec, exec, s[8:9]
	s_load_dwordx2 s[2:3], s[4:5], 0x20
	s_load_dwordx2 s[14:15], s[4:5], 0x8
	v_mov_b32_e32 v0, 0
	s_waitcnt lgkmcnt(0)
	s_barrier
	s_waitcnt lgkmcnt(0)
                                        ; implicit-def: $vgpr21
                                        ; implicit-def: $vgpr3
                                        ; implicit-def: $vgpr7
                                        ; implicit-def: $vgpr5
                                        ; implicit-def: $vgpr11
                                        ; implicit-def: $vgpr9
                                        ; implicit-def: $vgpr13
                                        ; implicit-def: $vgpr15
                                        ; implicit-def: $vgpr52
	s_and_saveexec_b64 s[4:5], s[0:1]
	s_cbranch_execz .LBB0_5
; %bb.4:
	v_lshl_add_u32 v17, v29, 2, v36
	v_add_u32_e32 v2, 0x400, v17
	ds_read2_b32 v[0:1], v17 offset1:66
	ds_read2_b32 v[14:15], v17 offset0:132 offset1:198
	ds_read2_b32 v[12:13], v2 offset0:8 offset1:74
	;; [unrolled: 1-line block ×3, first 2 shown]
	v_add_u32_e32 v2, 0x800, v17
	ds_read2_b32 v[10:11], v2 offset0:16 offset1:82
	ds_read2_b32 v[4:5], v2 offset0:148 offset1:214
	v_add_u32_e32 v2, 0xc00, v17
	ds_read2_b32 v[6:7], v2 offset0:24 offset1:90
	ds_read2_b32 v[2:3], v2 offset0:156 offset1:222
	ds_read_b32 v21, v17 offset:4224
	s_waitcnt lgkmcnt(7)
	v_alignbit_b32 v52, v14, v14, 16
.LBB0_5:
	s_or_b64 exec, exec, s[4:5]
	s_waitcnt lgkmcnt(0)
	v_pk_add_f16 v22, v1, v21 neg_lo:[0,1] neg_hi:[0,1]
	s_mov_b32 s11, 0xbbf7
	v_pk_add_f16 v14, v21, v1
	s_movk_i32 s9, 0x2de8
	v_mul_f16_sdwa v34, v22, s11 dst_sel:DWORD dst_unused:UNUSED_PAD src0_sel:WORD_1 src1_sel:DWORD
	s_mov_b32 s10, 0xbbb2
	v_pk_add_f16 v23, v3, v52 op_sel:[1,0] op_sel_hi:[0,1]
	v_pk_add_f16 v25, v52, v3 op_sel:[1,0] op_sel_hi:[0,1] neg_lo:[0,1] neg_hi:[0,1]
	s_mov_b32 s18, 0xb1e1
	v_fma_f16 v17, v14, s9, v34
	s_mov_b32 s8, 0xb461
	v_mul_f16_sdwa v41, v22, s10 dst_sel:DWORD dst_unused:UNUSED_PAD src0_sel:WORD_1 src1_sel:DWORD
	v_lshrrev_b32_e32 v60, 16, v23
	s_mov_b32 s16, 0xbbdd
	v_mul_f16_sdwa v48, v25, s18 dst_sel:DWORD dst_unused:UNUSED_PAD src0_sel:WORD_1 src1_sel:DWORD
	s_movk_i32 s4, 0x3836
	v_add_f16_e32 v17, v17, v0
	v_fma_f16 v18, v14, s8, v41
	v_fma_f16 v19, v60, s16, v48
	s_mov_b32 s17, 0xbacd
	v_mul_f16_sdwa v53, v25, s4 dst_sel:DWORD dst_unused:UNUSED_PAD src0_sel:WORD_1 src1_sel:DWORD
	s_movk_i32 s4, 0x3bb2
	v_pk_add_f16 v27, v15, v2 neg_lo:[0,1] neg_hi:[0,1]
	v_add_f16_e32 v18, v18, v0
	v_add_f16_e32 v17, v19, v17
	v_fma_f16 v19, v60, s17, v53
	v_pk_add_f16 v26, v2, v15
	v_mul_f16_sdwa v54, v27, s4 dst_sel:DWORD dst_unused:UNUSED_PAD src0_sel:WORD_1 src1_sel:DWORD
	s_movk_i32 s21, 0x3964
	v_add_f16_e32 v18, v19, v18
	v_fma_f16 v19, v26, s8, v54
	s_movk_i32 s19, 0x39e9
	v_mul_f16_sdwa v56, v27, s21 dst_sel:DWORD dst_unused:UNUSED_PAD src0_sel:WORD_1 src1_sel:DWORD
	s_movk_i32 s23, 0x35c8
	v_pk_add_f16 v31, v12, v7 neg_lo:[0,1] neg_hi:[0,1]
	v_add_f16_e32 v17, v19, v17
	v_fma_f16 v19, v26, s19, v56
	s_movk_i32 s20, 0x3b76
	v_pk_add_f16 v28, v7, v12
	v_mul_f16_sdwa v57, v31, s23 dst_sel:DWORD dst_unused:UNUSED_PAD src0_sel:WORD_1 src1_sel:DWORD
	s_mov_b32 s5, 0xbb29
	v_add_f16_e32 v18, v19, v18
	v_fma_f16 v19, v28, s20, v57
	s_movk_i32 s22, 0x3722
	v_mul_f16_sdwa v59, v31, s5 dst_sel:DWORD dst_unused:UNUSED_PAD src0_sel:WORD_1 src1_sel:DWORD
	v_pk_add_f16 v32, v13, v6 neg_lo:[0,1] neg_hi:[0,1]
	v_add_f16_e32 v17, v19, v17
	v_fma_f16 v19, v28, s22, v59
	v_pk_add_f16 v30, v6, v13
	v_mul_f16_sdwa v58, v32, s5 dst_sel:DWORD dst_unused:UNUSED_PAD src0_sel:WORD_1 src1_sel:DWORD
	v_add_f16_e32 v18, v19, v18
	v_fma_f16 v19, v30, s22, v58
	v_mul_f16_sdwa v61, v32, s18 dst_sel:DWORD dst_unused:UNUSED_PAD src0_sel:WORD_1 src1_sel:DWORD
	s_mov_b32 s24, 0xb836
	v_pk_add_f16 v38, v8, v5 neg_lo:[0,1] neg_hi:[0,1]
	v_add_f16_e32 v17, v19, v17
	v_fma_f16 v19, v30, s16, v61
	v_pk_add_f16 v33, v5, v8
	v_mul_f16_sdwa v62, v38, s24 dst_sel:DWORD dst_unused:UNUSED_PAD src0_sel:WORD_1 src1_sel:DWORD
	s_movk_i32 s26, 0x3bf7
	v_add_f16_e32 v18, v19, v18
	v_fma_f16 v19, v33, s17, v62
	v_mul_f16_sdwa v63, v38, s26 dst_sel:DWORD dst_unused:UNUSED_PAD src0_sel:WORD_1 src1_sel:DWORD
	s_movk_i32 s27, 0x3a62
	v_pk_add_f16 v51, v9, v4 neg_lo:[0,1] neg_hi:[0,1]
	v_add_f16_e32 v17, v19, v17
	v_fma_f16 v19, v33, s9, v63
	s_mov_b32 s25, 0xb8d2
	v_pk_add_f16 v49, v4, v9
	v_mul_f16_sdwa v64, v51, s27 dst_sel:DWORD dst_unused:UNUSED_PAD src0_sel:WORD_1 src1_sel:DWORD
	s_mov_b32 s28, 0xb5c8
	v_add_f16_e32 v18, v19, v18
	v_fma_f16 v19, v49, s25, v64
	v_mul_f16_sdwa v69, v51, s28 dst_sel:DWORD dst_unused:UNUSED_PAD src0_sel:WORD_1 src1_sel:DWORD
	v_pk_add_f16 v55, v10, v11 neg_lo:[0,1] neg_hi:[0,1]
	v_add_f16_e32 v17, v19, v17
	v_fma_f16 v19, v49, s20, v69
	s_mov_b32 s29, 0xba62
	v_pk_add_f16 v50, v11, v10
	v_mul_f16_sdwa v71, v55, s21 dst_sel:DWORD dst_unused:UNUSED_PAD src0_sel:WORD_1 src1_sel:DWORD
	v_add_f16_e32 v19, v19, v18
	v_fma_f16 v18, v50, s19, v71
	v_mul_f16_sdwa v78, v55, s29 dst_sel:DWORD dst_unused:UNUSED_PAD src0_sel:WORD_1 src1_sel:DWORD
	v_add_f16_e32 v18, v18, v17
	v_fma_f16 v17, v50, s25, v78
	v_mul_f16_sdwa v65, v22, s28 dst_sel:DWORD dst_unused:UNUSED_PAD src0_sel:WORD_1 src1_sel:DWORD
	s_mov_b32 s30, 0xb964
	v_add_f16_e32 v17, v17, v19
	v_fma_f16 v19, v14, s20, v65
	v_mul_f16_sdwa v66, v25, s30 dst_sel:DWORD dst_unused:UNUSED_PAD src0_sel:WORD_1 src1_sel:DWORD
	v_add_f16_e32 v19, v19, v0
	v_fma_f16 v20, v60, s19, v66
	v_lshrrev_b32_e32 v123, 16, v14
	v_mul_f16_e32 v67, 0xb964, v22
	v_add_f16_e32 v19, v20, v19
	v_fma_f16 v20, v123, s19, -v67
	v_mul_f16_e32 v68, 0xbbf7, v25
	v_add_f16_sdwa v20, v20, v0 dst_sel:DWORD dst_unused:UNUSED_PAD src0_sel:DWORD src1_sel:WORD_1
	v_fma_f16 v24, v23, s9, -v68
	v_mul_f16_sdwa v72, v22, s5 dst_sel:DWORD dst_unused:UNUSED_PAD src0_sel:WORD_1 src1_sel:DWORD
	v_add_f16_e32 v20, v24, v20
	v_fma_f16 v24, v14, s22, v72
	v_mul_f16_sdwa v73, v25, s29 dst_sel:DWORD dst_unused:UNUSED_PAD src0_sel:WORD_1 src1_sel:DWORD
	v_add_f16_e32 v24, v24, v0
	v_fma_f16 v35, v60, s25, v73
	v_mul_f16_e32 v76, 0xbb29, v22
	v_add_f16_e32 v24, v35, v24
	v_fma_f16 v35, v123, s22, -v76
	v_mul_f16_e32 v77, 0xba62, v25
	v_add_f16_sdwa v35, v35, v0 dst_sel:DWORD dst_unused:UNUSED_PAD src0_sel:DWORD src1_sel:WORD_1
	v_fma_f16 v40, v23, s25, -v77
	v_mul_f16_e32 v83, 0xbbf7, v22
	v_add_f16_e32 v35, v40, v35
	v_fma_f16 v40, v123, s9, -v83
	v_mul_f16_e32 v84, 0xb1e1, v25
	v_add_f16_sdwa v40, v40, v0 dst_sel:DWORD dst_unused:UNUSED_PAD src0_sel:DWORD src1_sel:WORD_1
	v_fma_f16 v42, v23, s16, -v84
	;; [unrolled: 6-line block ×3, first 2 shown]
	v_mul_f16_sdwa v100, v22, s29 dst_sel:DWORD dst_unused:UNUSED_PAD src0_sel:WORD_1 src1_sel:DWORD
	v_add_f16_e32 v42, v43, v42
	v_fma_f16 v43, v14, s25, v100
	v_mul_f16_sdwa v101, v25, s4 dst_sel:DWORD dst_unused:UNUSED_PAD src0_sel:WORD_1 src1_sel:DWORD
	v_add_f16_e32 v43, v43, v0
	v_fma_f16 v44, v60, s8, v101
	v_mul_f16_e32 v106, 0xba62, v22
	v_add_f16_e32 v43, v44, v43
	v_fma_f16 v44, v123, s25, -v106
	v_mul_f16_e32 v107, 0x3bb2, v25
	v_add_f16_sdwa v44, v44, v0 dst_sel:DWORD dst_unused:UNUSED_PAD src0_sel:DWORD src1_sel:WORD_1
	v_fma_f16 v45, v23, s8, -v107
	v_mul_f16_sdwa v70, v27, s5 dst_sel:DWORD dst_unused:UNUSED_PAD src0_sel:WORD_1 src1_sel:DWORD
	v_add_f16_e32 v44, v45, v44
	v_fma_f16 v45, v26, s22, v70
	v_lshrrev_b32_e32 v138, 16, v26
	v_mul_f16_e32 v75, 0xba62, v27
	s_movk_i32 s5, 0x31e1
	v_add_f16_e32 v19, v45, v19
	v_fma_f16 v45, v138, s25, -v75
	v_mul_f16_sdwa v80, v27, s5 dst_sel:DWORD dst_unused:UNUSED_PAD src0_sel:WORD_1 src1_sel:DWORD
	v_add_f16_e32 v20, v45, v20
	v_fma_f16 v45, v26, s16, v80
	v_mul_f16_e32 v82, 0x31e1, v27
	v_add_f16_e32 v24, v45, v24
	v_fma_f16 v45, v138, s16, -v82
	v_mul_f16_e32 v92, 0x3bb2, v27
	v_add_f16_e32 v35, v45, v35
	v_fma_f16 v45, v138, s8, -v92
	v_mul_f16_e32 v103, 0x3964, v27
	v_add_f16_e32 v40, v45, v40
	v_fma_f16 v45, v138, s19, -v103
	v_mul_f16_sdwa v108, v27, s28 dst_sel:DWORD dst_unused:UNUSED_PAD src0_sel:WORD_1 src1_sel:DWORD
	v_add_f16_e32 v42, v45, v42
	v_fma_f16 v45, v26, s20, v108
	v_mul_f16_e32 v120, 0xb5c8, v27
	v_add_f16_e32 v43, v45, v43
	v_fma_f16 v45, v138, s20, -v120
	v_mul_f16_sdwa v74, v31, s11 dst_sel:DWORD dst_unused:UNUSED_PAD src0_sel:WORD_1 src1_sel:DWORD
	v_add_f16_e32 v44, v45, v44
	v_fma_f16 v45, v28, s9, v74
	v_lshrrev_b32_e32 v142, 16, v28
	v_mul_f16_e32 v81, 0xb1e1, v31
	v_add_f16_e32 v19, v45, v19
	v_fma_f16 v45, v142, s16, -v81
	v_mul_f16_sdwa v86, v31, s4 dst_sel:DWORD dst_unused:UNUSED_PAD src0_sel:WORD_1 src1_sel:DWORD
	v_add_f16_e32 v20, v45, v20
	v_fma_f16 v45, v28, s8, v86
	v_mul_f16_e32 v88, 0x3bb2, v31
	v_add_f16_e32 v24, v45, v24
	v_fma_f16 v45, v142, s8, -v88
	v_mul_f16_e32 v99, 0x35c8, v31
	v_add_f16_e32 v35, v45, v35
	v_fma_f16 v45, v142, s20, -v99
	v_mul_f16_e32 v112, 0xbb29, v31
	v_add_f16_e32 v40, v45, v40
	v_fma_f16 v45, v142, s22, -v112
	v_mul_f16_sdwa v121, v31, s24 dst_sel:DWORD dst_unused:UNUSED_PAD src0_sel:WORD_1 src1_sel:DWORD
	v_add_f16_e32 v42, v45, v42
	v_fma_f16 v45, v28, s17, v121
	v_mul_f16_e32 v127, 0xb836, v31
	v_add_f16_e32 v43, v45, v43
	v_fma_f16 v45, v142, s17, -v127
	v_mul_f16_sdwa v79, v32, s10 dst_sel:DWORD dst_unused:UNUSED_PAD src0_sel:WORD_1 src1_sel:DWORD
	v_add_f16_e32 v44, v45, v44
	v_fma_f16 v45, v30, s8, v79
	v_lshrrev_b32_e32 v144, 16, v30
	v_mul_f16_e32 v87, 0x3836, v32
	;; [unrolled: 25-line block ×4, first 2 shown]
	v_add_f16_e32 v19, v45, v19
	v_fma_f16 v45, v150, s22, -v98
	v_mul_f16_sdwa v104, v51, s11 dst_sel:DWORD dst_unused:UNUSED_PAD src0_sel:WORD_1 src1_sel:DWORD
	v_add_f16_e32 v45, v45, v20
	v_fma_f16 v20, v49, s9, v104
	v_mul_f16_e32 v111, 0xbbf7, v51
	v_add_f16_e32 v20, v20, v24
	v_fma_f16 v24, v150, s9, -v111
	v_mul_f16_e32 v125, 0x3a62, v51
	v_add_f16_e32 v24, v24, v35
	v_fma_f16 v35, v150, s25, -v125
	;; [unrolled: 3-line block ×3, first 2 shown]
	v_mul_f16_sdwa v146, v51, s18 dst_sel:DWORD dst_unused:UNUSED_PAD src0_sel:WORD_1 src1_sel:DWORD
	v_add_f16_e32 v40, v40, v42
	v_fma_f16 v42, v49, s16, v146
	v_mul_f16_e32 v149, 0xb1e1, v51
	s_mov_b32 s4, 0x3b7639e9
	v_add_f16_e32 v155, v42, v43
	v_fma_f16 v42, v150, s16, -v149
	v_mul_f16_sdwa v96, v55, s18 dst_sel:DWORD dst_unused:UNUSED_PAD src0_sel:WORD_1 src1_sel:DWORD
	s_mov_b32 s5, 0xb964b5c8
	s_mov_b32 s31, 0xbbf7b964
	v_pk_mul_f16 v128, v14, s4
	v_add_f16_e32 v47, v42, v44
	v_fma_f16 v42, v50, s16, v96
	s_mov_b32 s30, 0x2de839e9
	s_mov_b32 s33, 0x3722b8d2
	v_pk_fma_f16 v109, v22, s5, v128 op_sel:[0,0,1] op_sel_hi:[1,1,0]
	v_pk_mul_f16 v129, v25, s31
	v_add_f16_e32 v42, v42, v19
	s_mov_b32 s34, 0xba62bb29
	s_mov_b32 s35, 0x2de8bbdd
	v_pk_fma_f16 v110, v23, s30, v129
	v_add_f16_sdwa v19, v109, v0 dst_sel:DWORD dst_unused:UNUSED_PAD src0_sel:WORD_1 src1_sel:DWORD
	v_pk_mul_f16 v130, v26, s33
	s_mov_b32 s36, 0xb1e1bbf7
	s_mov_b32 s37, 0xb461bacd
	v_add_f16_sdwa v19, v110, v19 dst_sel:DWORD dst_unused:UNUSED_PAD src0_sel:WORD_1 src1_sel:DWORD
	v_pk_fma_f16 v113, v27, s34, v130 op_sel:[0,0,1] op_sel_hi:[1,1,0]
	v_pk_mul_f16 v131, v28, s35
	s_mov_b32 s38, 0x3836bbb2
	s_mov_b32 s39, 0xb8d2b461
	v_add_f16_sdwa v19, v113, v19 dst_sel:DWORD dst_unused:UNUSED_PAD src0_sel:WORD_1 src1_sel:DWORD
	v_pk_fma_f16 v114, v31, s36, v131 op_sel:[0,0,1] op_sel_hi:[1,1,0]
	;; [unrolled: 5-line block ×4, first 2 shown]
	v_pk_mul_f16 v135, v49, s41
	s_mov_b32 s44, 0x35c8b1e1
	v_add_f16_sdwa v19, v116, v19 dst_sel:DWORD dst_unused:UNUSED_PAD src0_sel:WORD_1 src1_sel:DWORD
	v_pk_fma_f16 v117, v51, s42, v135 op_sel:[0,0,1] op_sel_hi:[1,1,0]
	v_mul_f16_sdwa v126, v55, s24 dst_sel:DWORD dst_unused:UNUSED_PAD src0_sel:WORD_1 src1_sel:DWORD
	v_pk_mul_f16 v136, v50, s43
	v_lshrrev_b32_e32 v153, 16, v50
	v_mul_f16_e32 v140, 0xb836, v55
	v_add_f16_sdwa v43, v117, v19 dst_sel:DWORD dst_unused:UNUSED_PAD src0_sel:WORD_1 src1_sel:DWORD
	v_fma_f16 v19, v50, s17, v126
	v_pk_fma_f16 v119, v55, s44, v136 op_sel:[0,0,1] op_sel_hi:[1,1,0]
	v_mul_f16_e32 v124, 0x35c8, v55
	v_fma_f16 v44, v153, s17, -v140
	v_mul_f16_e32 v148, 0x3964, v55
	v_add_f16_e32 v19, v19, v20
	v_add_f16_sdwa v20, v119, v43 dst_sel:DWORD dst_unused:UNUSED_PAD src0_sel:WORD_1 src1_sel:DWORD
	v_fma_f16 v43, v153, s20, -v124
	v_add_f16_e32 v44, v44, v24
	v_fma_f16 v24, v153, s19, -v148
	v_mul_f16_e32 v151, 0xba62, v55
	v_add_f16_e32 v43, v43, v45
	v_add_f16_e32 v45, v24, v35
	v_fma_f16 v24, v153, s25, -v151
	v_mul_f16_e32 v152, 0x3b29, v55
	v_add_f16_e32 v46, v24, v40
	v_fma_f16 v24, v153, s22, -v152
	v_pk_fma_f16 v128, v22, s5, v128 op_sel:[0,0,1] op_sel_hi:[1,1,0] neg_lo:[1,0,0] neg_hi:[1,0,0]
	v_add_f16_e32 v35, v24, v47
	v_pk_fma_f16 v129, v23, s30, v129 neg_lo:[0,0,1] neg_hi:[0,0,1]
	v_add_f16_sdwa v24, v128, v0 dst_sel:DWORD dst_unused:UNUSED_PAD src0_sel:DWORD src1_sel:WORD_1
	v_pk_fma_f16 v130, v27, s34, v130 op_sel:[0,0,1] op_sel_hi:[1,1,0] neg_lo:[1,0,0] neg_hi:[1,0,0]
	v_add_f16_e32 v24, v129, v24
	v_pk_fma_f16 v131, v31, s36, v131 op_sel:[0,0,1] op_sel_hi:[1,1,0] neg_lo:[1,0,0] neg_hi:[1,0,0]
	v_add_f16_e32 v24, v130, v24
	;; [unrolled: 2-line block ×4, first 2 shown]
	v_pk_fma_f16 v135, v51, s42, v135 op_sel:[0,0,1] op_sel_hi:[1,1,0] neg_lo:[1,0,0] neg_hi:[1,0,0]
	s_movk_i32 s30, 0x3b29
	v_add_f16_e32 v24, v134, v24
	v_pk_fma_f16 v136, v55, s44, v136 op_sel:[0,0,1] op_sel_hi:[1,1,0] neg_lo:[1,0,0] neg_hi:[1,0,0]
	v_add_f16_e32 v24, v135, v24
	v_mul_f16_sdwa v154, v55, s30 dst_sel:DWORD dst_unused:UNUSED_PAD src0_sel:WORD_1 src1_sel:DWORD
	v_add_f16_e32 v47, v136, v24
	v_fma_f16 v24, v50, s22, v154
	v_add_f16_e32 v24, v24, v155
	v_mul_lo_u16_e32 v40, 17, v37
	s_barrier
	s_and_saveexec_b64 s[4:5], s[0:1]
	s_cbranch_execz .LBB0_7
; %bb.6:
	v_mul_f16_e32 v160, 0x2de8, v14
	v_mul_f16_e32 v162, 0xb461, v14
	;; [unrolled: 1-line block ×3, first 2 shown]
	v_sub_f16_e32 v34, v160, v34
	v_mul_f16_e32 v171, 0xbacd, v60
	v_mul_f16_e32 v178, 0xb461, v26
	v_sub_f16_e32 v41, v162, v41
	v_add_f16_e32 v34, v34, v0
	v_sub_f16_e32 v48, v169, v48
	v_mul_f16_e32 v180, 0x39e9, v26
	v_mul_f16_e32 v187, 0x3b76, v28
	v_add_f16_e32 v41, v41, v0
	v_sub_f16_e32 v53, v171, v53
	v_add_f16_e32 v34, v48, v34
	v_sub_f16_e32 v48, v178, v54
	v_mul_f16_e32 v189, 0x3722, v28
	v_mul_f16_e32 v196, 0x3722, v30
	v_add_f16_e32 v41, v53, v41
	;; [unrolled: 6-line block ×7, first 2 shown]
	v_sub_f16_e32 v53, v225, v78
	v_add_f16_e32 v34, v48, v34
	v_add_f16_e32 v48, v76, v159
	v_mul_f16_e32 v170, 0xbbdd, v23
	v_mul_f16_e32 v177, 0xbbdd, v138
	v_add_f16_e32 v41, v53, v41
	v_add_f16_e32 v53, v83, v161
	v_add_f16_sdwa v48, v48, v0 dst_sel:DWORD dst_unused:UNUSED_PAD src0_sel:DWORD src1_sel:WORD_1
	v_add_f16_e32 v54, v77, v168
	v_mul_f16_e32 v179, 0xb461, v138
	v_mul_f16_e32 v186, 0xb461, v142
	v_add_f16_sdwa v53, v53, v0 dst_sel:DWORD dst_unused:UNUSED_PAD src0_sel:DWORD src1_sel:WORD_1
	v_add_f16_e32 v56, v84, v170
	v_add_f16_e32 v48, v54, v48
	v_add_f16_e32 v54, v82, v177
	v_mul_f16_e32 v188, 0x3b76, v142
	v_mul_f16_e32 v195, 0x39e9, v144
	v_add_f16_e32 v53, v56, v53
	v_add_f16_e32 v56, v92, v179
	v_add_f16_e32 v48, v54, v48
	v_add_f16_e32 v54, v88, v186
	v_mul_f16_e32 v197, 0x3722, v144
	v_mul_f16_e32 v204, 0x3b76, v147
	v_add_f16_e32 v53, v56, v53
	;; [unrolled: 6-line block ×5, first 2 shown]
	v_add_f16_e32 v56, v125, v215
	v_add_f16_e32 v48, v54, v48
	;; [unrolled: 1-line block ×3, first 2 shown]
	v_mul_f16_e32 v167, 0xb8d2, v60
	v_add_f16_e32 v53, v56, v53
	v_add_f16_e32 v56, v148, v224
	;; [unrolled: 1-line block ×3, first 2 shown]
	v_sub_f16_e32 v54, v158, v72
	v_mul_f16_e32 v176, 0xbbdd, v26
	v_add_f16_e32 v53, v56, v53
	v_add_f16_e32 v54, v54, v0
	v_sub_f16_e32 v56, v167, v73
	v_mul_f16_e32 v185, 0xb461, v28
	v_add_f16_e32 v54, v56, v54
	v_sub_f16_e32 v56, v176, v80
	v_alignbit_b32 v155, v0, v0, 16
	v_mul_f16_e32 v194, 0x39e9, v30
	v_add_f16_e32 v54, v56, v54
	v_sub_f16_e32 v56, v185, v86
	v_alignbit_b32 v52, v52, v52, 16
	v_mul_f16_e32 v203, 0x3b76, v33
	v_add_f16_e32 v54, v56, v54
	v_sub_f16_e32 v56, v194, v90
	v_pk_add_f16 v1, v1, v155 op_sel:[0,1] op_sel_hi:[1,0]
	v_mul_f16_e32 v212, 0x2de8, v49
	v_add_f16_e32 v54, v56, v54
	v_sub_f16_e32 v56, v203, v97
	v_pk_add_f16 v1, v52, v1
	v_mul_f16_e32 v221, 0xbacd, v50
	v_add_f16_e32 v54, v56, v54
	v_sub_f16_e32 v56, v212, v104
	v_pk_add_f16 v1, v15, v1
	v_mul_f16_e32 v157, 0x39e9, v123
	v_add_f16_e32 v54, v56, v54
	v_sub_f16_e32 v56, v221, v126
	v_pk_add_f16 v1, v12, v1
	v_mul_f16_e32 v166, 0x2de8, v23
	v_add_f16_e32 v54, v56, v54
	v_add_f16_e32 v56, v67, v157
	v_pk_add_f16 v1, v13, v1
	v_mul_f16_e32 v175, 0xb8d2, v138
	v_add_f16_sdwa v56, v56, v0 dst_sel:DWORD dst_unused:UNUSED_PAD src0_sel:DWORD src1_sel:WORD_1
	v_add_f16_e32 v57, v68, v166
	v_pk_add_f16 v1, v8, v1
	v_mul_f16_e32 v184, 0xbbdd, v142
	v_add_f16_e32 v56, v57, v56
	v_add_f16_e32 v57, v75, v175
	v_pk_add_f16 v1, v9, v1
	v_mul_f16_e32 v193, 0xbacd, v144
	v_add_f16_e32 v56, v57, v56
	;; [unrolled: 4-line block ×5, first 2 shown]
	v_add_f16_e32 v57, v98, v211
	v_pk_add_f16 v1, v5, v1
	v_mul_f16_e32 v156, 0x3b76, v14
	v_mul_f16_e32 v163, 0xb461, v123
	v_mul_f16_e32 v164, 0xb8d2, v14
	v_mul_f16_e32 v123, 0xb8d2, v123
	v_add_f16_e32 v56, v57, v56
	v_add_f16_e32 v57, v124, v220
	s_mov_b32 s31, 0xffff
	v_pk_add_f16 v1, v6, v1
	v_mul_f16_e32 v165, 0x39e9, v60
	v_add_f16_e32 v106, v106, v123
	v_sub_f16_e32 v100, v164, v100
	v_add_f16_e32 v93, v93, v163
	v_add_f16_e32 v56, v57, v56
	v_bfi_b32 v57, s31, v109, v128
	v_sub_f16_e32 v65, v156, v65
	v_pk_add_f16 v1, v7, v1
	v_mul_f16_e32 v174, 0x3722, v26
	v_add_f16_sdwa v106, v106, v0 dst_sel:DWORD dst_unused:UNUSED_PAD src0_sel:DWORD src1_sel:WORD_1
	v_add_f16_e32 v100, v100, v0
	v_add_f16_sdwa v93, v93, v0 dst_sel:DWORD dst_unused:UNUSED_PAD src0_sel:DWORD src1_sel:WORD_1
	v_bfi_b32 v58, s31, v110, v129
	v_add_f16_e32 v0, v65, v0
	v_sub_f16_e32 v65, v165, v66
	v_pk_add_f16 v1, v2, v1
	v_pk_add_f16 v2, v57, v155
	v_mul_f16_e32 v172, 0xbacd, v23
	v_mul_f16_e32 v60, 0xb461, v60
	;; [unrolled: 1-line block ×4, first 2 shown]
	v_bfi_b32 v59, s31, v113, v130
	v_add_f16_e32 v0, v65, v0
	v_sub_f16_e32 v65, v174, v70
	v_pk_add_f16 v2, v58, v2
	v_mul_f16_e32 v181, 0x39e9, v138
	v_mul_f16_e32 v182, 0x3b76, v26
	;; [unrolled: 1-line block ×4, first 2 shown]
	v_add_f16_e32 v107, v107, v173
	v_sub_f16_e32 v60, v60, v101
	v_add_f16_e32 v94, v94, v172
	v_bfi_b32 v61, s31, v114, v131
	v_add_f16_e32 v0, v65, v0
	v_sub_f16_e32 v65, v183, v74
	v_pk_add_f16 v2, v59, v2
	v_mul_f16_e32 v190, 0x3722, v142
	v_mul_f16_e32 v191, 0xbacd, v28
	v_mul_f16_e32 v142, 0xbacd, v142
	v_mul_f16_e32 v201, 0xb8d2, v33
	v_add_f16_e32 v106, v107, v106
	v_add_f16_e32 v107, v120, v138
	v_add_f16_e32 v60, v60, v100
	v_sub_f16_e32 v100, v182, v108
	v_add_f16_e32 v93, v94, v93
	v_add_f16_e32 v94, v103, v181
	v_bfi_b32 v62, s31, v115, v132
	v_add_f16_e32 v0, v65, v0
	v_sub_f16_e32 v65, v192, v79
	v_pk_add_f16 v2, v61, v2
	v_mul_f16_e32 v199, 0xbbdd, v144
	v_mul_f16_e32 v200, 0x2de8, v30
	v_mul_f16_e32 v144, 0x2de8, v144
	v_mul_f16_e32 v210, 0xbacd, v49
	v_add_f16_e32 v106, v107, v106
	v_add_f16_e32 v107, v127, v142
	v_add_f16_e32 v60, v100, v60
	v_sub_f16_e32 v100, v191, v121
	v_add_f16_e32 v93, v94, v93
	v_add_f16_e32 v94, v112, v190
	v_bfi_b32 v63, s31, v116, v134
	v_add_f16_e32 v0, v65, v0
	v_sub_f16_e32 v65, v201, v85
	v_pk_add_f16 v2, v62, v2
	v_mul_f16_e32 v208, 0x2de8, v147
	v_mul_f16_e32 v209, 0x39e9, v33
	v_mul_f16_e32 v147, 0x39e9, v147
	v_mul_f16_e32 v219, 0xbbdd, v50
	v_add_f16_e32 v106, v107, v106
	v_add_f16_e32 v107, v139, v144
	v_add_f16_e32 v60, v100, v60
	v_sub_f16_e32 v100, v200, v133
	v_add_f16_e32 v93, v94, v93
	v_add_f16_e32 v94, v122, v199
	v_bfi_b32 v64, s31, v117, v135
	v_add_f16_e32 v0, v65, v0
	v_sub_f16_e32 v65, v210, v89
	v_pk_add_f16 v2, v63, v2
	v_mul_f16_e32 v217, 0x3b76, v150
	v_mul_f16_e32 v218, 0xbbdd, v49
	;; [unrolled: 1-line block ×3, first 2 shown]
	v_add_f16_e32 v106, v107, v106
	v_add_f16_e32 v107, v145, v147
	;; [unrolled: 1-line block ×3, first 2 shown]
	v_sub_f16_e32 v100, v209, v141
	v_add_f16_e32 v93, v94, v93
	v_add_f16_e32 v94, v137, v208
	v_bfi_b32 v67, s31, v119, v136
	v_add_f16_e32 v0, v65, v0
	v_sub_f16_e32 v65, v219, v96
	v_pk_add_f16 v2, v64, v2
	v_mul_f16_e32 v226, 0xb8d2, v153
	v_mul_f16_e32 v227, 0x3722, v50
	;; [unrolled: 1-line block ×3, first 2 shown]
	v_add_f16_e32 v106, v107, v106
	v_add_f16_e32 v107, v149, v150
	;; [unrolled: 1-line block ×3, first 2 shown]
	v_sub_f16_e32 v100, v218, v146
	v_add_f16_e32 v93, v94, v93
	v_add_f16_e32 v94, v143, v217
	;; [unrolled: 1-line block ×3, first 2 shown]
	v_pk_add_f16 v2, v67, v2
	v_add_f16_e32 v106, v107, v106
	v_add_f16_e32 v107, v152, v153
	;; [unrolled: 1-line block ×3, first 2 shown]
	v_sub_f16_e32 v100, v227, v154
	v_add_f16_e32 v93, v94, v93
	v_add_f16_e32 v94, v151, v226
	v_add_lshl_u32 v12, v29, v40, 2
	v_pk_add_f16 v1, v3, v1
	v_alignbit_b32 v3, v56, v2, 16
	v_pack_b32_f16 v0, v0, v2
	v_add_f16_e32 v106, v107, v106
	v_add_f16_e32 v60, v100, v60
	;; [unrolled: 1-line block ×3, first 2 shown]
	ds_write2_b32 v12, v0, v3 offset0:1 offset1:2
	v_pack_b32_f16 v0, v34, v53
	v_pack_b32_f16 v2, v54, v48
	ds_write2_b32 v12, v2, v0 offset0:3 offset1:4
	v_pack_b32_f16 v0, v60, v106
	v_pack_b32_f16 v2, v41, v93
	ds_write2_b32 v12, v2, v0 offset0:5 offset1:6
	v_pk_mul_f16 v0, v14, s16 op_sel_hi:[1,0]
	v_pk_fma_f16 v2, v22, s18, v0 op_sel:[0,0,1] op_sel_hi:[1,0,0] neg_lo:[1,0,0] neg_hi:[1,0,0]
	v_pk_mul_f16 v3, v25, s23 op_sel_hi:[1,0]
	v_pk_add_f16 v2, v2, v155
	v_pk_fma_f16 v4, v23, s20, v3 op_sel_hi:[1,0,1] neg_lo:[0,0,1] neg_hi:[0,0,1]
	v_pk_add_f16 v2, v4, v2
	v_pk_mul_f16 v4, v26, s17 op_sel_hi:[1,0]
	v_pk_fma_f16 v5, v27, s24, v4 op_sel:[0,0,1] op_sel_hi:[1,0,0] neg_lo:[1,0,0] neg_hi:[1,0,0]
	v_pk_add_f16 v2, v5, v2
	v_pk_mul_f16 v5, v28, s19 op_sel_hi:[1,0]
	v_pk_fma_f16 v6, v31, s21, v5 op_sel:[0,0,1] op_sel_hi:[1,0,0] neg_lo:[1,0,0] neg_hi:[1,0,0]
	v_pk_add_f16 v2, v6, v2
	v_pk_mul_f16 v6, v30, s25 op_sel_hi:[1,0]
	v_pk_fma_f16 v0, v22, s18, v0 op_sel:[0,0,1] op_sel_hi:[1,0,0]
	v_pk_fma_f16 v7, v32, s29, v6 op_sel:[0,0,1] op_sel_hi:[1,0,0] neg_lo:[1,0,0] neg_hi:[1,0,0]
	v_pk_add_f16 v0, v0, v155
	v_pk_fma_f16 v3, v23, s20, v3 op_sel_hi:[1,0,1]
	v_pk_add_f16 v2, v7, v2
	v_pk_mul_f16 v7, v33, s22 op_sel_hi:[1,0]
	v_pk_add_f16 v0, v3, v0
	v_pk_fma_f16 v3, v27, s24, v4 op_sel:[0,0,1] op_sel_hi:[1,0,0]
	v_pk_fma_f16 v8, v38, s30, v7 op_sel:[0,0,1] op_sel_hi:[1,0,0] neg_lo:[1,0,0] neg_hi:[1,0,0]
	v_pk_add_f16 v0, v3, v0
	v_pk_fma_f16 v3, v31, s21, v5 op_sel:[0,0,1] op_sel_hi:[1,0,0]
	v_pk_add_f16 v2, v8, v2
	v_pk_mul_f16 v8, v49, s8 op_sel_hi:[1,0]
	v_pk_add_f16 v0, v3, v0
	v_pk_fma_f16 v3, v32, s29, v6 op_sel:[0,0,1] op_sel_hi:[1,0,0]
	v_pk_fma_f16 v9, v51, s10, v8 op_sel:[0,0,1] op_sel_hi:[1,0,0] neg_lo:[1,0,0] neg_hi:[1,0,0]
	v_pk_add_f16 v0, v3, v0
	v_pk_fma_f16 v3, v38, s30, v7 op_sel:[0,0,1] op_sel_hi:[1,0,0]
	v_pk_add_f16 v2, v9, v2
	v_pk_mul_f16 v9, v50, s9 op_sel_hi:[1,0]
	v_pk_add_f16 v0, v3, v0
	v_pk_fma_f16 v3, v51, s10, v8 op_sel:[0,0,1] op_sel_hi:[1,0,0]
	v_pk_add_f16 v0, v3, v0
	v_pk_fma_f16 v3, v55, s26, v9 op_sel:[0,0,1] op_sel_hi:[1,0,0]
	v_pk_add_f16 v0, v3, v0
	v_pk_mul_f16 v3, v22, s24 op_sel_hi:[1,0]
	v_pk_fma_f16 v4, v14, s17, v3 op_sel:[0,0,1] op_sel_hi:[1,0,0]
	v_alignbit_b32 v5, s0, v4, 16
	v_pk_mul_f16 v6, v25, s30 op_sel_hi:[1,0]
	v_pk_mul_f16 v8, v27, s11 op_sel_hi:[1,0]
	v_pk_fma_f16 v10, v55, s26, v9 op_sel:[0,0,1] op_sel_hi:[1,0,0] neg_lo:[1,0,0] neg_hi:[1,0,0]
	v_pk_add_f16 v5, v5, v155
	v_pk_fma_f16 v7, v23, s22, v6 op_sel_hi:[1,0,1]
	v_pk_fma_f16 v9, v26, s9, v8 op_sel:[0,0,1] op_sel_hi:[1,0,0]
	v_pk_add_f16 v2, v10, v2
	v_pk_add_f16 v5, v7, v5
	v_alignbit_b32 v10, s0, v9, 16
	v_pk_add_f16 v5, v10, v5
	v_pk_mul_f16 v10, v31, s27 op_sel_hi:[1,0]
	v_pk_fma_f16 v11, v28, s25, v10 op_sel:[0,0,1] op_sel_hi:[1,0,0]
	v_alignbit_b32 v13, s0, v11, 16
	v_pk_add_f16 v5, v13, v5
	v_pk_mul_f16 v13, v32, s28 op_sel_hi:[1,0]
	v_pk_fma_f16 v15, v30, s20, v13 op_sel:[0,0,1] op_sel_hi:[1,0,0]
	v_pk_add_f16 v1, v21, v1
	v_alignbit_b32 v21, s0, v15, 16
	v_pk_add_f16 v5, v21, v5
	v_pk_mul_f16 v21, v38, s18 op_sel_hi:[1,0]
	v_pk_fma_f16 v22, v33, s16, v21 op_sel:[0,0,1] op_sel_hi:[1,0,0]
	v_pk_fma_f16 v3, v14, s17, v3 op_sel:[0,0,1] op_sel_hi:[1,0,0] neg_lo:[0,0,1] neg_hi:[0,0,1]
	v_alignbit_b32 v14, s0, v155, 16
	v_pk_fma_f16 v6, v23, s22, v6 op_sel_hi:[1,0,1] neg_lo:[0,0,1] neg_hi:[0,0,1]
	v_alignbit_b32 v25, s0, v22, 16
	v_pk_add_f16 v14, v3, v14
	v_alignbit_b32 v23, s0, v6, 16
	v_bfi_b32 v3, s31, v4, v3
	v_pk_add_f16 v5, v25, v5
	v_pk_mul_f16 v25, v51, s21 op_sel_hi:[1,0]
	v_pk_add_f16 v14, v23, v14
	v_pk_fma_f16 v8, v26, s9, v8 op_sel:[0,0,1] op_sel_hi:[1,0,0] neg_lo:[0,0,1] neg_hi:[0,0,1]
	v_pk_add_f16 v3, v3, v155 op_sel:[0,1] op_sel_hi:[1,0]
	v_alignbit_b32 v4, v6, v7, 16
	v_pk_fma_f16 v27, v49, s19, v25 op_sel:[0,0,1] op_sel_hi:[1,0,0]
	v_pk_add_f16 v14, v8, v14
	v_pk_fma_f16 v10, v28, s25, v10 op_sel:[0,0,1] op_sel_hi:[1,0,0] neg_lo:[0,0,1] neg_hi:[0,0,1]
	v_pk_add_f16 v3, v4, v3
	v_bfi_b32 v4, s31, v9, v8
	v_alignbit_b32 v31, s0, v27, 16
	v_pk_add_f16 v14, v10, v14
	v_pk_fma_f16 v13, v30, s20, v13 op_sel:[0,0,1] op_sel_hi:[1,0,0] neg_lo:[0,0,1] neg_hi:[0,0,1]
	v_pk_add_f16 v3, v4, v3
	v_bfi_b32 v4, s31, v11, v10
	v_pk_add_f16 v5, v31, v5
	v_pk_mul_f16 v31, v55, s10 op_sel_hi:[1,0]
	v_pk_add_f16 v14, v13, v14
	v_pk_fma_f16 v21, v33, s16, v21 op_sel:[0,0,1] op_sel_hi:[1,0,0] neg_lo:[0,0,1] neg_hi:[0,0,1]
	v_pk_add_f16 v3, v4, v3
	v_bfi_b32 v4, s31, v15, v13
	v_pk_fma_f16 v32, v50, s8, v31 op_sel:[0,0,1] op_sel_hi:[1,0,0]
	v_pk_add_f16 v14, v21, v14
	v_pk_fma_f16 v23, v49, s19, v25 op_sel:[0,0,1] op_sel_hi:[1,0,0] neg_lo:[0,0,1] neg_hi:[0,0,1]
	v_pk_add_f16 v3, v4, v3
	v_bfi_b32 v4, s31, v22, v21
	v_alignbit_b32 v34, s0, v32, 16
	v_pk_add_f16 v14, v23, v14
	v_pk_fma_f16 v25, v50, s8, v31 op_sel:[0,0,1] op_sel_hi:[1,0,0] neg_lo:[0,0,1] neg_hi:[0,0,1]
	v_pk_add_f16 v3, v4, v3
	v_bfi_b32 v4, s31, v27, v23
	v_pk_add_f16 v5, v34, v5
	v_pk_add_f16 v14, v25, v14
	v_pk_add_f16 v3, v4, v3
	v_bfi_b32 v4, s31, v32, v25
	v_pk_add_f16 v3, v4, v3
	v_pack_b32_f16 v4, v14, v5
	ds_write2_b32 v12, v1, v4 offset1:7
	v_alignbit_b32 v1, v2, v0, 16
	v_alignbit_b32 v0, v0, v2, 16
	s_mov_b32 s8, 0x5040100
	ds_write2_b32 v12, v0, v1 offset0:8 offset1:9
	v_perm_b32 v0, v35, v24, s8
	ds_write2_b32 v12, v3, v0 offset0:10 offset1:11
	v_perm_b32 v0, v45, v18, s8
	v_perm_b32 v1, v46, v17, s8
	ds_write2_b32 v12, v1, v0 offset0:12 offset1:13
	v_perm_b32 v0, v43, v20, s8
	;; [unrolled: 3-line block ×3, first 2 shown]
	ds_write_b32 v12, v0 offset:64
.LBB0_7:
	s_or_b64 exec, exec, s[4:5]
	s_load_dwordx4 s[8:11], s[2:3], 0x0
	s_movk_i32 s2, 0xf1
	v_mul_lo_u16_sdwa v0, v37, s2 dst_sel:DWORD dst_unused:UNUSED_PAD src0_sel:BYTE_0 src1_sel:DWORD
	v_lshrrev_b16_e32 v30, 12, v0
	v_mul_lo_u16_e32 v0, 17, v30
	v_sub_u16_e32 v31, v37, v0
	v_mov_b32_e32 v0, 10
	v_mul_u32_u24_sdwa v0, v31, v0 dst_sel:DWORD dst_unused:UNUSED_PAD src0_sel:BYTE_0 src1_sel:DWORD
	v_lshlrev_b32_e32 v8, 2, v0
	s_waitcnt lgkmcnt(0)
	s_barrier
	global_load_dwordx4 v[0:3], v8, s[14:15]
	global_load_dwordx4 v[4:7], v8, s[14:15] offset:16
	global_load_dwordx2 v[21:22], v8, s[14:15] offset:32
	v_add_lshl_u32 v41, v29, v37, 2
	ds_read2_b32 v[8:9], v41 offset1:102
	v_add_u32_e32 v10, 0x200, v41
	v_add_u32_e32 v12, 0x400, v41
	;; [unrolled: 1-line block ×4, first 2 shown]
	ds_read_b32 v27, v41 offset:4080
	ds_read2_b32 v[10:11], v10 offset0:76 offset1:178
	ds_read2_b32 v[12:13], v12 offset0:152 offset1:254
	;; [unrolled: 1-line block ×4, first 2 shown]
	s_waitcnt lgkmcnt(5)
	v_lshrrev_b32_e32 v23, 16, v9
	s_waitcnt lgkmcnt(3)
	v_lshrrev_b32_e32 v32, 16, v10
	v_lshrrev_b32_e32 v33, 16, v11
	s_waitcnt lgkmcnt(2)
	v_lshrrev_b32_e32 v34, 16, v12
	;; [unrolled: 3-line block ×4, first 2 shown]
	v_lshrrev_b32_e32 v28, 16, v27
	v_lshrrev_b32_e32 v51, 16, v26
	s_movk_i32 s4, 0x3abb
	s_movk_i32 s2, 0x36a6
	s_mov_b32 s3, 0xb08e
	s_mov_b32 s5, 0xb93d
	;; [unrolled: 1-line block ×3, first 2 shown]
	s_waitcnt vmcnt(0)
	s_barrier
	v_mul_f16_sdwa v52, v23, v0 dst_sel:DWORD dst_unused:UNUSED_PAD src0_sel:DWORD src1_sel:WORD_1
	v_mul_f16_sdwa v53, v9, v0 dst_sel:DWORD dst_unused:UNUSED_PAD src0_sel:DWORD src1_sel:WORD_1
	;; [unrolled: 1-line block ×3, first 2 shown]
	v_fma_f16 v9, v9, v0, -v52
	v_mul_f16_sdwa v55, v10, v1 dst_sel:DWORD dst_unused:UNUSED_PAD src0_sel:DWORD src1_sel:WORD_1
	v_mul_f16_sdwa v56, v33, v2 dst_sel:DWORD dst_unused:UNUSED_PAD src0_sel:DWORD src1_sel:WORD_1
	v_fma_f16 v23, v23, v0, v53
	v_fma_f16 v10, v10, v1, -v54
	v_add_f16_e32 v52, v8, v9
	v_mul_f16_sdwa v57, v11, v2 dst_sel:DWORD dst_unused:UNUSED_PAD src0_sel:DWORD src1_sel:WORD_1
	v_mul_f16_sdwa v58, v34, v3 dst_sel:DWORD dst_unused:UNUSED_PAD src0_sel:DWORD src1_sel:WORD_1
	v_fma_f16 v32, v32, v1, v55
	v_fma_f16 v11, v11, v2, -v56
	v_add_f16_sdwa v53, v8, v23 dst_sel:DWORD dst_unused:UNUSED_PAD src0_sel:WORD_1 src1_sel:DWORD
	v_add_f16_e32 v52, v52, v10
	v_mul_f16_sdwa v59, v12, v3 dst_sel:DWORD dst_unused:UNUSED_PAD src0_sel:DWORD src1_sel:WORD_1
	v_mul_f16_sdwa v60, v38, v4 dst_sel:DWORD dst_unused:UNUSED_PAD src0_sel:DWORD src1_sel:WORD_1
	v_fma_f16 v33, v33, v2, v57
	v_fma_f16 v12, v12, v3, -v58
	v_add_f16_e32 v53, v53, v32
	v_add_f16_e32 v52, v52, v11
	v_mul_f16_sdwa v61, v13, v4 dst_sel:DWORD dst_unused:UNUSED_PAD src0_sel:DWORD src1_sel:WORD_1
	v_mul_f16_sdwa v62, v48, v5 dst_sel:DWORD dst_unused:UNUSED_PAD src0_sel:DWORD src1_sel:WORD_1
	v_fma_f16 v34, v34, v3, v59
	v_fma_f16 v13, v13, v4, -v60
	v_add_f16_e32 v53, v53, v33
	;; [unrolled: 6-line block ×4, first 2 shown]
	v_add_f16_e32 v52, v52, v14
	v_mul_f16_sdwa v67, v25, v7 dst_sel:DWORD dst_unused:UNUSED_PAD src0_sel:DWORD src1_sel:WORD_1
	v_mul_f16_sdwa v68, v51, v21 dst_sel:DWORD dst_unused:UNUSED_PAD src0_sel:DWORD src1_sel:WORD_1
	v_mul_f16_sdwa v70, v28, v22 dst_sel:DWORD dst_unused:UNUSED_PAD src0_sel:DWORD src1_sel:WORD_1
	v_mul_f16_sdwa v71, v27, v22 dst_sel:DWORD dst_unused:UNUSED_PAD src0_sel:DWORD src1_sel:WORD_1
	v_fma_f16 v49, v49, v6, v65
	v_fma_f16 v25, v25, v7, -v66
	v_add_f16_e32 v53, v53, v48
	v_add_f16_e32 v52, v52, v15
	v_mul_f16_sdwa v69, v26, v21 dst_sel:DWORD dst_unused:UNUSED_PAD src0_sel:DWORD src1_sel:WORD_1
	v_fma_f16 v50, v50, v7, v67
	v_fma_f16 v26, v26, v21, -v68
	v_fma_f16 v27, v27, v22, -v70
	v_fma_f16 v28, v28, v22, v71
	v_add_f16_e32 v53, v53, v49
	v_add_f16_e32 v52, v52, v25
	v_fma_f16 v51, v51, v21, v69
	v_add_f16_e32 v54, v9, v27
	v_add_f16_e32 v55, v23, v28
	v_sub_f16_e32 v9, v9, v27
	v_add_f16_e32 v53, v53, v50
	v_add_f16_e32 v52, v52, v26
	v_sub_f16_e32 v23, v23, v28
	v_add_f16_e32 v53, v53, v51
	v_add_f16_e32 v56, v52, v27
	v_mul_f16_e32 v27, 0xb853, v23
	v_mul_f16_e32 v52, 0xb853, v9
	;; [unrolled: 1-line block ×10, first 2 shown]
	v_add_f16_e32 v57, v53, v28
	v_fma_f16 v28, v54, s4, -v27
	v_fma_f16 v53, v55, s4, v52
	v_fma_f16 v27, v54, s4, v27
	v_fma_f16 v52, v55, s4, -v52
	v_fma_f16 v59, v54, s2, -v58
	v_fma_f16 v61, v55, s2, v60
	v_fma_f16 v58, v54, s2, v58
	v_fma_f16 v60, v55, s2, -v60
	v_fma_f16 v63, v54, s3, -v62
	v_fma_f16 v65, v55, s3, v64
	v_fma_f16 v62, v54, s3, v62
	v_fma_f16 v64, v55, s3, -v64
	v_fma_f16 v67, v54, s5, -v66
	v_fma_f16 v69, v55, s5, v68
	v_fma_f16 v66, v54, s5, v66
	v_fma_f16 v68, v55, s5, -v68
	v_fma_f16 v70, v54, s16, -v23
	v_fma_f16 v71, v55, s16, v9
	v_fma_f16 v23, v54, s16, v23
	v_fma_f16 v9, v55, s16, -v9
	v_add_f16_e32 v28, v8, v28
	v_add_f16_sdwa v53, v8, v53 dst_sel:DWORD dst_unused:UNUSED_PAD src0_sel:WORD_1 src1_sel:DWORD
	v_add_f16_e32 v27, v8, v27
	v_add_f16_sdwa v52, v8, v52 dst_sel:DWORD dst_unused:UNUSED_PAD src0_sel:WORD_1 src1_sel:DWORD
	;; [unrolled: 2-line block ×10, first 2 shown]
	v_add_f16_e32 v9, v10, v26
	v_sub_f16_e32 v10, v10, v26
	v_sub_f16_e32 v26, v32, v51
	v_add_f16_e32 v54, v32, v51
	v_mul_f16_e32 v32, 0xbb47, v26
	v_fma_f16 v51, v9, s2, -v32
	v_add_f16_e32 v28, v51, v28
	v_mul_f16_e32 v51, 0xbb47, v10
	v_fma_f16 v32, v9, s2, v32
	v_fma_f16 v55, v54, s2, v51
	v_add_f16_e32 v27, v32, v27
	v_fma_f16 v32, v54, s2, -v51
	v_mul_f16_e32 v51, 0xba0c, v26
	v_add_f16_e32 v53, v55, v53
	v_add_f16_e32 v32, v32, v52
	v_fma_f16 v52, v9, s5, -v51
	v_mul_f16_e32 v55, 0xba0c, v10
	v_fma_f16 v51, v9, s5, v51
	v_add_f16_e32 v52, v52, v59
	v_fma_f16 v59, v54, s5, v55
	v_add_f16_e32 v51, v51, v58
	v_fma_f16 v55, v54, s5, -v55
	v_mul_f16_e32 v58, 0x3482, v26
	v_add_f16_e32 v59, v59, v61
	v_add_f16_e32 v55, v55, v60
	v_fma_f16 v60, v9, s16, -v58
	v_mul_f16_e32 v61, 0x3482, v10
	v_fma_f16 v58, v9, s16, v58
	v_add_f16_e32 v60, v60, v63
	v_fma_f16 v63, v54, s16, v61
	v_add_f16_e32 v58, v58, v62
	v_fma_f16 v61, v54, s16, -v61
	v_mul_f16_e32 v62, 0x3beb, v26
	v_add_f16_e32 v63, v63, v65
	v_add_f16_e32 v61, v61, v64
	v_fma_f16 v64, v9, s3, -v62
	v_mul_f16_e32 v65, 0x3beb, v10
	v_add_f16_e32 v64, v64, v67
	v_fma_f16 v67, v54, s3, v65
	v_fma_f16 v65, v54, s3, -v65
	v_mul_f16_e32 v10, 0x3853, v10
	v_add_f16_e32 v65, v65, v68
	v_fma_f16 v68, v54, s4, v10
	v_fma_f16 v10, v54, s4, -v10
	v_fma_f16 v62, v9, s3, v62
	v_mul_f16_e32 v26, 0x3853, v26
	v_add_f16_e32 v8, v10, v8
	v_add_f16_e32 v10, v11, v25
	v_sub_f16_e32 v11, v11, v25
	v_sub_f16_e32 v25, v33, v50
	v_add_f16_e32 v62, v62, v66
	v_fma_f16 v66, v9, s4, -v26
	v_fma_f16 v9, v9, s4, v26
	v_mul_f16_e32 v26, 0xbbeb, v25
	v_add_f16_e32 v9, v9, v23
	v_add_f16_e32 v23, v33, v50
	v_fma_f16 v33, v10, s3, -v26
	v_add_f16_e32 v28, v33, v28
	v_mul_f16_e32 v33, 0xbbeb, v11
	v_fma_f16 v26, v10, s3, v26
	v_add_f16_e32 v26, v26, v27
	v_fma_f16 v27, v23, s3, -v33
	v_add_f16_e32 v27, v27, v32
	v_mul_f16_e32 v32, 0x3482, v25
	v_fma_f16 v50, v23, s3, v33
	v_fma_f16 v33, v10, s16, -v32
	v_add_f16_e32 v33, v33, v52
	v_mul_f16_e32 v52, 0x3482, v11
	v_fma_f16 v32, v10, s16, v32
	v_add_f16_e32 v50, v50, v53
	v_fma_f16 v53, v23, s16, v52
	v_add_f16_e32 v32, v32, v51
	v_fma_f16 v51, v23, s16, -v52
	v_mul_f16_e32 v52, 0x3b47, v25
	v_fma_f16 v54, v10, s2, -v52
	v_fma_f16 v52, v10, s2, v52
	v_add_f16_e32 v51, v51, v55
	v_mul_f16_e32 v55, 0x3b47, v11
	v_add_f16_e32 v52, v52, v58
	v_mul_f16_e32 v58, 0xb853, v25
	v_add_f16_e32 v53, v53, v59
	v_add_f16_e32 v54, v54, v60
	v_fma_f16 v59, v23, s2, v55
	v_fma_f16 v55, v23, s2, -v55
	v_fma_f16 v60, v10, s4, -v58
	v_fma_f16 v58, v10, s4, v58
	v_mul_f16_e32 v25, 0xba0c, v25
	v_add_f16_e32 v55, v55, v61
	v_mul_f16_e32 v61, 0xb853, v11
	v_add_f16_e32 v58, v58, v62
	v_fma_f16 v62, v10, s5, -v25
	v_mul_f16_e32 v11, 0xba0c, v11
	v_fma_f16 v10, v10, s5, v25
	v_add_f16_e32 v9, v10, v9
	v_fma_f16 v10, v23, s5, -v11
	v_add_f16_e32 v8, v10, v8
	v_add_f16_e32 v10, v12, v15
	v_sub_f16_e32 v12, v12, v15
	v_sub_f16_e32 v15, v34, v49
	v_add_f16_e32 v59, v59, v63
	v_add_f16_e32 v60, v60, v64
	v_fma_f16 v63, v23, s4, v61
	v_fma_f16 v61, v23, s4, -v61
	v_fma_f16 v64, v23, s5, v11
	v_mul_f16_e32 v23, 0xba0c, v15
	v_fma_f16 v25, v10, s5, -v23
	v_add_f16_e32 v11, v34, v49
	v_add_f16_e32 v25, v25, v28
	v_mul_f16_e32 v28, 0xba0c, v12
	v_fma_f16 v23, v10, s5, v23
	v_add_f16_e32 v23, v23, v26
	v_fma_f16 v26, v11, s5, -v28
	v_add_f16_e32 v26, v26, v27
	v_mul_f16_e32 v27, 0x3beb, v15
	v_fma_f16 v34, v11, s5, v28
	v_fma_f16 v28, v10, s3, -v27
	v_add_f16_e32 v28, v28, v33
	v_mul_f16_e32 v33, 0x3beb, v12
	v_fma_f16 v27, v10, s3, v27
	v_add_f16_e32 v27, v27, v32
	v_fma_f16 v32, v11, s3, -v33
	v_fma_f16 v49, v11, s3, v33
	v_add_f16_e32 v32, v32, v51
	v_mul_f16_e32 v33, 0xb853, v15
	v_mul_f16_e32 v51, 0xb853, v12
	v_add_f16_e32 v34, v34, v50
	v_add_f16_e32 v49, v49, v53
	v_fma_f16 v50, v10, s4, -v33
	v_fma_f16 v53, v11, s4, v51
	v_fma_f16 v51, v11, s4, -v51
	v_add_f16_e32 v50, v50, v54
	v_fma_f16 v33, v10, s4, v33
	v_add_f16_e32 v54, v51, v55
	v_mul_f16_e32 v51, 0xb482, v15
	v_add_f16_e32 v33, v33, v52
	v_fma_f16 v52, v10, s16, -v51
	v_add_f16_e32 v55, v52, v60
	v_mul_f16_e32 v52, 0xb482, v12
	v_fma_f16 v51, v10, s16, v51
	v_add_f16_e32 v61, v61, v65
	v_add_f16_e32 v58, v51, v58
	v_fma_f16 v51, v11, s16, -v52
	v_mul_f16_e32 v15, 0x3b47, v15
	v_add_f16_e32 v66, v66, v70
	v_add_f16_e32 v60, v51, v61
	v_fma_f16 v51, v10, s2, -v15
	v_mul_f16_e32 v12, 0x3b47, v12
	v_fma_f16 v10, v10, s2, v15
	v_add_f16_e32 v62, v62, v66
	v_add_f16_e32 v9, v10, v9
	v_fma_f16 v10, v11, s2, -v12
	v_add_f16_e32 v61, v51, v62
	v_fma_f16 v51, v11, s2, v12
	v_add_f16_e32 v8, v10, v8
	v_add_f16_e32 v10, v13, v14
	v_sub_f16_e32 v12, v13, v14
	v_sub_f16_e32 v13, v38, v48
	v_mul_f16_e32 v14, 0xb482, v13
	v_fma_f16 v15, v10, s16, -v14
	v_add_f16_e32 v68, v68, v71
	v_add_f16_e32 v53, v53, v59
	v_fma_f16 v59, v11, s16, v52
	v_add_f16_e32 v11, v38, v48
	v_add_f16_e32 v15, v15, v25
	v_mul_f16_e32 v25, 0xb482, v12
	v_fma_f16 v14, v10, s16, v14
	v_add_f16_e32 v64, v64, v68
	v_add_f16_e32 v23, v14, v23
	v_fma_f16 v14, v11, s16, -v25
	v_add_f16_e32 v62, v51, v64
	v_add_f16_e32 v51, v14, v26
	v_mul_f16_e32 v14, 0x3853, v13
	v_fma_f16 v38, v11, s16, v25
	v_fma_f16 v25, v10, s4, -v14
	v_add_f16_e32 v48, v25, v28
	v_mul_f16_e32 v25, 0x3853, v12
	v_fma_f16 v14, v10, s4, v14
	v_add_f16_e32 v28, v14, v27
	v_fma_f16 v14, v11, s4, -v25
	v_add_f16_e32 v52, v14, v32
	v_mul_f16_e32 v14, 0xba0c, v13
	v_add_f16_e32 v67, v67, v69
	v_fma_f16 v26, v11, s4, v25
	v_fma_f16 v25, v10, s5, -v14
	v_add_f16_e32 v63, v63, v67
	v_add_f16_e32 v32, v25, v50
	v_mul_f16_e32 v25, 0xba0c, v12
	v_fma_f16 v14, v10, s5, v14
	v_add_f16_e32 v59, v59, v63
	v_add_f16_e32 v63, v26, v49
	v_fma_f16 v26, v11, s5, v25
	v_add_f16_e32 v27, v14, v33
	v_fma_f16 v14, v11, s5, -v25
	v_add_f16_e32 v50, v26, v53
	v_add_f16_e32 v53, v14, v54
	v_mul_f16_e32 v14, 0x3b47, v13
	v_fma_f16 v25, v10, s2, -v14
	v_add_f16_e32 v33, v25, v55
	v_mul_f16_e32 v25, 0x3b47, v12
	v_fma_f16 v26, v11, s2, v25
	v_fma_f16 v14, v10, s2, v14
	v_add_f16_e32 v55, v26, v59
	v_add_f16_e32 v26, v14, v58
	v_fma_f16 v14, v11, s2, -v25
	v_mul_f16_e32 v13, 0xbbeb, v13
	v_mul_f16_e32 v12, 0xbbeb, v12
	v_add_f16_e32 v54, v14, v60
	v_fma_f16 v14, v10, s3, -v13
	v_fma_f16 v25, v11, s3, v12
	v_fma_f16 v10, v10, s3, v13
	v_add_f16_e32 v58, v25, v62
	v_add_f16_e32 v25, v10, v9
	v_fma_f16 v9, v11, s3, -v12
	v_add_f16_e32 v34, v38, v34
	v_add_f16_e32 v38, v9, v8
	v_mul_u32_u24_e32 v8, 0xbb, v30
	v_add_u32_sdwa v8, v8, v31 dst_sel:DWORD dst_unused:UNUSED_PAD src0_sel:DWORD src1_sel:BYTE_0
	v_add_lshl_u32 v49, v29, v8, 2
	v_pack_b32_f16 v8, v56, v57
	v_pack_b32_f16 v9, v15, v34
	v_add_f16_e32 v14, v14, v61
	ds_write2_b32 v49, v8, v9 offset1:17
	v_pack_b32_f16 v8, v48, v63
	v_pack_b32_f16 v9, v32, v50
	ds_write2_b32 v49, v8, v9 offset0:34 offset1:51
	v_pack_b32_f16 v8, v33, v55
	v_pack_b32_f16 v9, v14, v58
	ds_write2_b32 v49, v8, v9 offset0:68 offset1:85
	;; [unrolled: 3-line block ×4, first 2 shown]
	v_pack_b32_f16 v8, v23, v51
	ds_write_b32 v49, v8 offset:680
	v_add_u32_e32 v8, 0x500, v41
	s_waitcnt lgkmcnt(0)
	s_barrier
	ds_read2_b32 v[31:32], v8 offset0:54 offset1:241
	v_add_u32_e32 v8, 0xb00, v41
	ds_read2_b32 v[29:30], v41 offset1:187
	ds_read2_b32 v[33:34], v8 offset0:44 offset1:231
	s_movk_i32 s2, 0x55
	v_cmp_gt_u16_e64 s[2:3], s2, v37
	s_and_saveexec_b64 s[4:5], s[2:3]
	s_cbranch_execz .LBB0_9
; %bb.8:
	v_add_u32_e32 v8, 0x100, v41
	ds_read2_b32 v[25:26], v8 offset0:38 offset1:225
	v_add_u32_e32 v8, 0x700, v41
	ds_read2_b32 v[27:28], v8 offset0:28 offset1:215
	v_add_u32_e32 v8, 0xd00, v41
	ds_read2_b32 v[23:24], v8 offset0:18 offset1:205
	s_waitcnt lgkmcnt(2)
	v_lshrrev_b32_e32 v38, 16, v25
	v_lshrrev_b32_e32 v54, 16, v26
	s_waitcnt lgkmcnt(1)
	v_lshrrev_b32_e32 v53, 16, v27
	v_lshrrev_b32_e32 v52, 16, v28
	;; [unrolled: 3-line block ×3, first 2 shown]
.LBB0_9:
	s_or_b64 exec, exec, s[4:5]
	v_mad_u64_u32 v[8:9], s[4:5], v37, 20, s[14:15]
	v_add_u32_e32 v10, 0x66, v37
	v_add_u32_e32 v11, 0xffffffab, v37
	v_cndmask_b32_e64 v10, v11, v10, s[2:3]
	v_mul_hi_i32_i24_e32 v11, 20, v10
	v_mul_i32_i24_e32 v10, 20, v10
	v_mov_b32_e32 v48, s15
	v_add_co_u32_e32 v55, vcc, s14, v10
	global_load_dwordx4 v[12:15], v[8:9], off offset:680
	global_load_dword v50, v[8:9], off offset:696
	v_addc_co_u32_e32 v56, vcc, v48, v11, vcc
	global_load_dwordx4 v[8:11], v[55:56], off offset:680
	global_load_dword v48, v[55:56], off offset:696
	s_waitcnt lgkmcnt(2)
	v_lshrrev_b32_e32 v57, 16, v31
	s_waitcnt lgkmcnt(0)
	v_lshrrev_b32_e32 v59, 16, v33
	v_lshrrev_b32_e32 v58, 16, v32
	;; [unrolled: 1-line block ×5, first 2 shown]
	s_movk_i32 s4, 0x3aee
	s_mov_b32 s5, 0xbaee
	s_waitcnt vmcnt(3)
	v_mul_f16_sdwa v63, v57, v13 dst_sel:DWORD dst_unused:UNUSED_PAD src0_sel:DWORD src1_sel:WORD_1
	v_mul_f16_sdwa v67, v59, v15 dst_sel:DWORD dst_unused:UNUSED_PAD src0_sel:DWORD src1_sel:WORD_1
	;; [unrolled: 1-line block ×7, first 2 shown]
	s_waitcnt vmcnt(2)
	v_mul_f16_sdwa v69, v60, v50 dst_sel:DWORD dst_unused:UNUSED_PAD src0_sel:DWORD src1_sel:WORD_1
	v_mul_f16_sdwa v70, v34, v50 dst_sel:DWORD dst_unused:UNUSED_PAD src0_sel:DWORD src1_sel:WORD_1
	s_waitcnt vmcnt(1)
	v_mul_f16_sdwa v77, v51, v11 dst_sel:DWORD dst_unused:UNUSED_PAD src0_sel:DWORD src1_sel:WORD_1
	s_waitcnt vmcnt(0)
	v_mul_f16_sdwa v79, v35, v48 dst_sel:DWORD dst_unused:UNUSED_PAD src0_sel:DWORD src1_sel:WORD_1
	v_fma_f16 v31, v31, v13, -v63
	v_fma_f16 v33, v33, v15, -v67
	v_mul_f16_sdwa v61, v56, v12 dst_sel:DWORD dst_unused:UNUSED_PAD src0_sel:DWORD src1_sel:WORD_1
	v_mul_f16_sdwa v71, v54, v8 dst_sel:DWORD dst_unused:UNUSED_PAD src0_sel:DWORD src1_sel:WORD_1
	;; [unrolled: 1-line block ×8, first 2 shown]
	v_fma_f16 v56, v56, v12, v62
	v_fma_f16 v57, v57, v13, v64
	v_fma_f16 v32, v32, v14, -v65
	v_fma_f16 v58, v58, v14, v66
	v_fma_f16 v59, v59, v15, v68
	v_fma_f16 v34, v34, v50, -v69
	v_fma_f16 v60, v60, v50, v70
	v_fma_f16 v66, v23, v11, -v77
	v_fma_f16 v68, v24, v48, -v79
	v_add_f16_e32 v23, v29, v31
	v_add_f16_e32 v24, v31, v33
	v_mul_f16_sdwa v76, v28, v10 dst_sel:DWORD dst_unused:UNUSED_PAD src0_sel:DWORD src1_sel:WORD_1
	v_fma_f16 v30, v30, v12, -v61
	v_fma_f16 v61, v26, v8, -v71
	v_fma_f16 v62, v54, v8, v72
	v_fma_f16 v63, v27, v9, -v73
	v_fma_f16 v64, v53, v9, v74
	v_fma_f16 v65, v28, v10, -v75
	v_sub_f16_e32 v26, v57, v59
	v_add_f16_e32 v27, v55, v57
	v_add_f16_e32 v28, v57, v59
	v_sub_f16_e32 v31, v31, v33
	v_add_f16_e32 v53, v32, v34
	v_sub_f16_e32 v54, v58, v60
	v_add_f16_e32 v57, v56, v58
	v_add_f16_e32 v58, v58, v60
	;; [unrolled: 1-line block ×3, first 2 shown]
	v_fma_f16 v23, v24, -0.5, v29
	v_fma_f16 v24, v28, -0.5, v55
	;; [unrolled: 1-line block ×4, first 2 shown]
	v_fma_f16 v55, v26, s4, v23
	v_fma_f16 v56, v26, s5, v23
	v_sub_f16_e32 v23, v32, v34
	v_fma_f16 v67, v51, v11, v78
	v_add_f16_e32 v51, v30, v32
	v_fma_f16 v53, v54, s4, v28
	v_fma_f16 v28, v54, s5, v28
	;; [unrolled: 1-line block ×3, first 2 shown]
	v_add_f16_e32 v30, v57, v60
	v_fma_f16 v57, v31, s5, v24
	v_fma_f16 v31, v31, s4, v24
	;; [unrolled: 1-line block ×3, first 2 shown]
	v_mul_f16_e32 v24, 0x3aee, v32
	v_mul_f16_e32 v26, -0.5, v28
	v_add_f16_e32 v59, v27, v59
	v_add_f16_e32 v27, v51, v34
	v_fma_f16 v34, v53, 0.5, v24
	v_fma_f16 v58, v29, s4, v26
	v_mul_f16_e32 v29, -0.5, v29
	v_add_f16_e32 v24, v55, v34
	v_add_f16_e32 v51, v59, v30
	v_fma_f16 v60, v28, s5, v29
	v_sub_f16_e32 v28, v55, v34
	v_sub_f16_e32 v55, v59, v30
	v_add_f16_e32 v30, v25, v63
	v_add_f16_e32 v23, v33, v27
	v_sub_f16_e32 v27, v33, v27
	v_add_f16_e32 v33, v30, v66
	v_add_f16_e32 v30, v63, v66
	v_fma_f16 v25, v30, -0.5, v25
	v_sub_f16_e32 v30, v64, v67
	v_mul_f16_e32 v53, 0xbaee, v53
	v_fma_f16 v34, v30, s4, v25
	v_fma_f16 v25, v30, s5, v25
	v_add_f16_e32 v30, v38, v64
	v_fma_f16 v32, v32, 0.5, v53
	v_add_f16_e32 v69, v30, v67
	v_add_f16_e32 v30, v64, v67
	;; [unrolled: 1-line block ×5, first 2 shown]
	v_sub_f16_e32 v29, v56, v58
	v_sub_f16_e32 v56, v57, v32
	;; [unrolled: 1-line block ×3, first 2 shown]
	v_fma_f16 v30, v30, -0.5, v38
	v_sub_f16_e32 v31, v63, v66
	v_fma_f16 v38, v31, s5, v30
	v_fma_f16 v63, v31, s4, v30
	v_add_f16_e32 v30, v61, v65
	v_fma_f16 v52, v52, v10, v76
	v_fma_f16 v35, v35, v48, v80
	v_add_f16_e32 v64, v30, v68
	v_add_f16_e32 v30, v65, v68
	v_fma_f16 v30, v30, -0.5, v61
	v_sub_f16_e32 v31, v52, v35
	v_fma_f16 v59, v31, s4, v30
	v_fma_f16 v60, v31, s5, v30
	v_add_f16_e32 v30, v62, v52
	v_add_f16_e32 v61, v30, v35
	;; [unrolled: 1-line block ×3, first 2 shown]
	v_fma_f16 v30, v30, -0.5, v62
	v_sub_f16_e32 v31, v65, v68
	v_fma_f16 v35, v31, s5, v30
	v_fma_f16 v52, v31, s4, v30
	v_mul_f16_e32 v31, 0x3aee, v35
	v_fma_f16 v62, v59, 0.5, v31
	v_mul_f16_e32 v59, 0xbaee, v59
	v_mul_f16_e32 v32, -0.5, v60
	v_fma_f16 v66, v35, 0.5, v59
	v_mul_f16_e32 v35, -0.5, v52
	v_fma_f16 v65, v52, s4, v32
	v_fma_f16 v52, v60, s5, v35
	v_add_f16_e32 v31, v34, v62
	v_add_f16_e32 v32, v25, v65
	;; [unrolled: 1-line block ×4, first 2 shown]
	v_sub_f16_e32 v34, v34, v62
	v_sub_f16_e32 v35, v25, v65
	v_sub_f16_e32 v62, v38, v66
	v_sub_f16_e32 v63, v63, v52
	v_lshl_add_u32 v38, v37, 2, v39
	v_pack_b32_f16 v25, v23, v51
	v_pack_b32_f16 v52, v24, v53
	v_add_f16_e32 v30, v33, v64
	v_sub_f16_e32 v33, v33, v64
	ds_write2_b32 v38, v25, v52 offset1:187
	v_pack_b32_f16 v25, v26, v54
	v_pack_b32_f16 v52, v27, v55
	v_add_u32_e32 v64, 0x500, v38
	v_add_f16_e32 v58, v69, v61
	v_sub_f16_e32 v61, v69, v61
	ds_write2_b32 v64, v25, v52 offset0:54 offset1:241
	v_pack_b32_f16 v25, v28, v56
	v_pack_b32_f16 v52, v29, v57
	v_add_u32_e32 v64, 0xb00, v38
	ds_write2_b32 v64, v25, v52 offset0:44 offset1:231
	s_and_saveexec_b64 s[4:5], s[2:3]
	s_cbranch_execz .LBB0_11
; %bb.10:
	s_mov_b32 s14, 0x5040100
	v_perm_b32 v25, v58, v30, s14
	v_perm_b32 v52, v59, v31, s14
	v_add_u32_e32 v64, 0x100, v38
	ds_write2_b32 v64, v25, v52 offset0:38 offset1:225
	v_perm_b32 v25, v60, v32, s14
	v_perm_b32 v52, v61, v33, s14
	v_add_u32_e32 v64, 0x700, v38
	ds_write2_b32 v64, v25, v52 offset0:28 offset1:215
	v_perm_b32 v25, v62, v34, s14
	v_perm_b32 v52, v63, v35, s14
	v_add_u32_e32 v64, 0xd00, v38
	ds_write2_b32 v64, v25, v52 offset0:18 offset1:205
.LBB0_11:
	s_or_b64 exec, exec, s[4:5]
	s_waitcnt lgkmcnt(0)
	s_barrier
	s_and_saveexec_b64 s[4:5], s[0:1]
	s_cbranch_execz .LBB0_13
; %bb.12:
	v_mov_b32_e32 v25, s7
	v_add_co_u32_e32 v52, vcc, s6, v36
	v_addc_co_u32_e32 v25, vcc, 0, v25, vcc
	v_add_co_u32_e32 v64, vcc, 0x1188, v52
	v_addc_co_u32_e32 v65, vcc, 0, v25, vcc
	global_load_dword v76, v[64:65], off offset:264
	global_load_dword v77, v[64:65], off offset:528
	;; [unrolled: 1-line block ×3, first 2 shown]
	v_add_co_u32_e32 v66, vcc, 0x1000, v52
	global_load_dword v79, v[64:65], off offset:1056
	global_load_dword v80, v[64:65], off offset:1320
	;; [unrolled: 1-line block ×3, first 2 shown]
	v_addc_co_u32_e32 v67, vcc, 0, v25, vcc
	global_load_dword v82, v[66:67], off offset:392
	global_load_dword v83, v[64:65], off offset:1848
	global_load_dword v84, v[64:65], off offset:2112
	global_load_dword v85, v[64:65], off offset:2376
	v_add_u32_e32 v86, 0x400, v38
	ds_read2_b32 v[66:67], v38 offset1:66
	ds_read2_b32 v[68:69], v38 offset0:132 offset1:198
	ds_read2_b32 v[70:71], v86 offset0:8 offset1:74
	ds_read2_b32 v[72:73], v86 offset0:140 offset1:206
	global_load_dword v87, v[64:65], off offset:2640
	global_load_dword v88, v[64:65], off offset:2904
	;; [unrolled: 1-line block ×5, first 2 shown]
	v_add_co_u32_e32 v74, vcc, 0x2000, v52
	global_load_dword v52, v[64:65], off offset:3960
	v_addc_co_u32_e32 v75, vcc, 0, v25, vcc
	global_load_dword v74, v[74:75], off offset:520
	s_waitcnt lgkmcnt(3)
	v_lshrrev_b32_e32 v64, 16, v67
	s_waitcnt lgkmcnt(2)
	v_lshrrev_b32_e32 v65, 16, v68
	v_lshrrev_b32_e32 v92, 16, v69
	s_waitcnt lgkmcnt(1)
	v_lshrrev_b32_e32 v75, 16, v70
	v_lshrrev_b32_e32 v25, 16, v66
	;; [unrolled: 1-line block ×3, first 2 shown]
	s_waitcnt lgkmcnt(0)
	v_lshrrev_b32_e32 v94, 16, v72
	v_lshrrev_b32_e32 v95, 16, v73
	s_waitcnt vmcnt(16)
	v_mul_f16_sdwa v96, v64, v76 dst_sel:DWORD dst_unused:UNUSED_PAD src0_sel:DWORD src1_sel:WORD_1
	v_mul_f16_sdwa v97, v67, v76 dst_sel:DWORD dst_unused:UNUSED_PAD src0_sel:DWORD src1_sel:WORD_1
	s_waitcnt vmcnt(15)
	v_mul_f16_sdwa v98, v65, v77 dst_sel:DWORD dst_unused:UNUSED_PAD src0_sel:DWORD src1_sel:WORD_1
	v_mul_f16_sdwa v99, v68, v77 dst_sel:DWORD dst_unused:UNUSED_PAD src0_sel:DWORD src1_sel:WORD_1
	;; [unrolled: 3-line block ×6, first 2 shown]
	v_fma_f16 v67, v67, v76, -v96
	v_fma_f16 v64, v64, v76, v97
	v_fma_f16 v68, v68, v77, -v98
	v_fma_f16 v65, v65, v77, v99
	;; [unrolled: 2-line block ×6, first 2 shown]
	v_pack_b32_f16 v64, v67, v64
	v_pack_b32_f16 v65, v68, v65
	;; [unrolled: 1-line block ×6, first 2 shown]
	ds_write2_b32 v38, v65, v67 offset0:132 offset1:198
	ds_write2_b32 v86, v68, v69 offset0:8 offset1:74
	ds_write2_b32 v38, v25, v64 offset1:66
	v_add_u32_e32 v68, 0x800, v38
	ds_read2_b32 v[64:65], v68 offset0:16 offset1:82
	v_mul_f16_sdwa v106, v94, v81 dst_sel:DWORD dst_unused:UNUSED_PAD src0_sel:DWORD src1_sel:WORD_1
	v_mul_f16_sdwa v107, v72, v81 dst_sel:DWORD dst_unused:UNUSED_PAD src0_sel:DWORD src1_sel:WORD_1
	s_waitcnt vmcnt(9)
	v_mul_f16_sdwa v25, v95, v83 dst_sel:DWORD dst_unused:UNUSED_PAD src0_sel:DWORD src1_sel:WORD_1
	v_mul_f16_sdwa v66, v73, v83 dst_sel:DWORD dst_unused:UNUSED_PAD src0_sel:DWORD src1_sel:WORD_1
	v_fma_f16 v72, v72, v81, -v106
	v_fma_f16 v78, v94, v81, v107
	v_fma_f16 v25, v73, v83, -v25
	v_fma_f16 v66, v95, v83, v66
	v_pack_b32_f16 v70, v72, v78
	v_pack_b32_f16 v25, v25, v66
	ds_write2_b32 v86, v70, v25 offset0:140 offset1:206
	s_waitcnt lgkmcnt(1)
	v_lshrrev_b32_e32 v25, 16, v64
	s_waitcnt vmcnt(8)
	v_mul_f16_sdwa v66, v25, v84 dst_sel:DWORD dst_unused:UNUSED_PAD src0_sel:DWORD src1_sel:WORD_1
	v_fma_f16 v66, v64, v84, -v66
	v_mul_f16_sdwa v64, v64, v84 dst_sel:DWORD dst_unused:UNUSED_PAD src0_sel:DWORD src1_sel:WORD_1
	v_fma_f16 v25, v25, v84, v64
	v_lshrrev_b32_e32 v64, 16, v65
	v_pack_b32_f16 v25, v66, v25
	s_waitcnt vmcnt(7)
	v_mul_f16_sdwa v66, v64, v85 dst_sel:DWORD dst_unused:UNUSED_PAD src0_sel:DWORD src1_sel:WORD_1
	v_fma_f16 v69, v65, v85, -v66
	ds_read2_b32 v[66:67], v68 offset0:148 offset1:214
	v_mul_f16_sdwa v65, v65, v85 dst_sel:DWORD dst_unused:UNUSED_PAD src0_sel:DWORD src1_sel:WORD_1
	v_fma_f16 v64, v64, v85, v65
	v_pack_b32_f16 v64, v69, v64
	ds_write2_b32 v68, v25, v64 offset0:16 offset1:82
	s_waitcnt lgkmcnt(1)
	v_lshrrev_b32_e32 v25, 16, v66
	s_waitcnt vmcnt(6)
	v_mul_f16_sdwa v64, v25, v87 dst_sel:DWORD dst_unused:UNUSED_PAD src0_sel:DWORD src1_sel:WORD_1
	v_mul_f16_sdwa v65, v66, v87 dst_sel:DWORD dst_unused:UNUSED_PAD src0_sel:DWORD src1_sel:WORD_1
	v_fma_f16 v64, v66, v87, -v64
	v_fma_f16 v25, v25, v87, v65
	v_lshrrev_b32_e32 v66, 16, v67
	v_pack_b32_f16 v25, v64, v25
	s_waitcnt vmcnt(5)
	v_mul_f16_sdwa v64, v66, v88 dst_sel:DWORD dst_unused:UNUSED_PAD src0_sel:DWORD src1_sel:WORD_1
	v_add_u32_e32 v70, 0xc00, v38
	v_fma_f16 v69, v67, v88, -v64
	ds_read2_b32 v[64:65], v70 offset0:24 offset1:90
	v_mul_f16_sdwa v67, v67, v88 dst_sel:DWORD dst_unused:UNUSED_PAD src0_sel:DWORD src1_sel:WORD_1
	v_fma_f16 v66, v66, v88, v67
	v_pack_b32_f16 v66, v69, v66
	ds_write2_b32 v68, v25, v66 offset0:148 offset1:214
	s_waitcnt lgkmcnt(1)
	v_lshrrev_b32_e32 v25, 16, v64
	s_waitcnt vmcnt(4)
	v_mul_f16_sdwa v66, v25, v89 dst_sel:DWORD dst_unused:UNUSED_PAD src0_sel:DWORD src1_sel:WORD_1
	v_fma_f16 v66, v64, v89, -v66
	v_mul_f16_sdwa v64, v64, v89 dst_sel:DWORD dst_unused:UNUSED_PAD src0_sel:DWORD src1_sel:WORD_1
	v_fma_f16 v25, v25, v89, v64
	v_lshrrev_b32_e32 v64, 16, v65
	v_pack_b32_f16 v25, v66, v25
	s_waitcnt vmcnt(3)
	v_mul_f16_sdwa v66, v64, v90 dst_sel:DWORD dst_unused:UNUSED_PAD src0_sel:DWORD src1_sel:WORD_1
	v_fma_f16 v68, v65, v90, -v66
	ds_read2_b32 v[66:67], v70 offset0:156 offset1:222
	v_mul_f16_sdwa v65, v65, v90 dst_sel:DWORD dst_unused:UNUSED_PAD src0_sel:DWORD src1_sel:WORD_1
	v_fma_f16 v64, v64, v90, v65
	v_pack_b32_f16 v64, v68, v64
	ds_write2_b32 v70, v25, v64 offset0:24 offset1:90
	s_waitcnt lgkmcnt(1)
	v_lshrrev_b32_e32 v25, 16, v66
	s_waitcnt vmcnt(2)
	v_mul_f16_sdwa v64, v25, v91 dst_sel:DWORD dst_unused:UNUSED_PAD src0_sel:DWORD src1_sel:WORD_1
	v_mul_f16_sdwa v65, v66, v91 dst_sel:DWORD dst_unused:UNUSED_PAD src0_sel:DWORD src1_sel:WORD_1
	v_fma_f16 v64, v66, v91, -v64
	v_fma_f16 v25, v25, v91, v65
	v_pack_b32_f16 v25, v64, v25
	v_lshrrev_b32_e32 v64, 16, v67
	ds_read_b32 v66, v38 offset:4224
	s_waitcnt vmcnt(1)
	v_mul_f16_sdwa v65, v64, v52 dst_sel:DWORD dst_unused:UNUSED_PAD src0_sel:DWORD src1_sel:WORD_1
	v_fma_f16 v65, v67, v52, -v65
	v_mul_f16_sdwa v67, v67, v52 dst_sel:DWORD dst_unused:UNUSED_PAD src0_sel:DWORD src1_sel:WORD_1
	v_fma_f16 v52, v64, v52, v67
	v_pack_b32_f16 v52, v65, v52
	ds_write2_b32 v70, v25, v52 offset0:156 offset1:222
	s_waitcnt lgkmcnt(1)
	v_lshrrev_b32_e32 v25, 16, v66
	s_waitcnt vmcnt(0)
	v_mul_f16_sdwa v52, v25, v74 dst_sel:DWORD dst_unused:UNUSED_PAD src0_sel:DWORD src1_sel:WORD_1
	v_mul_f16_sdwa v64, v66, v74 dst_sel:DWORD dst_unused:UNUSED_PAD src0_sel:DWORD src1_sel:WORD_1
	v_fma_f16 v52, v66, v74, -v52
	v_fma_f16 v25, v25, v74, v64
	v_pack_b32_f16 v25, v52, v25
	ds_write_b32 v38, v25 offset:4224
.LBB0_13:
	s_or_b64 exec, exec, s[4:5]
	s_waitcnt lgkmcnt(0)
	s_barrier
	s_and_saveexec_b64 s[4:5], s[0:1]
	s_cbranch_execz .LBB0_15
; %bb.14:
	v_add_u32_e32 v17, 0x400, v38
	ds_read2_b32 v[23:24], v38 offset1:66
	ds_read2_b32 v[26:27], v38 offset0:132 offset1:198
	ds_read2_b32 v[28:29], v17 offset0:8 offset1:74
	;; [unrolled: 1-line block ×3, first 2 shown]
	v_add_u32_e32 v17, 0x800, v38
	v_add_u32_e32 v19, 0xc00, v38
	ds_read2_b32 v[32:33], v17 offset0:16 offset1:82
	ds_read2_b32 v[34:35], v17 offset0:148 offset1:214
	;; [unrolled: 1-line block ×4, first 2 shown]
	ds_read_b32 v42, v38 offset:4224
	s_waitcnt lgkmcnt(8)
	v_lshrrev_b32_e32 v51, 16, v23
	v_lshrrev_b32_e32 v53, 16, v24
	s_waitcnt lgkmcnt(7)
	v_lshrrev_b32_e32 v54, 16, v26
	v_lshrrev_b32_e32 v55, 16, v27
	;; [unrolled: 3-line block ×8, first 2 shown]
	s_waitcnt lgkmcnt(0)
	v_lshrrev_b32_e32 v47, 16, v42
.LBB0_15:
	s_or_b64 exec, exec, s[4:5]
	v_sub_f16_e32 v85, v53, v47
	v_add_f16_e32 v64, v42, v24
	v_add_f16_e32 v88, v47, v53
	s_mov_b32 s14, 0xb8d2
	v_mul_f16_e32 v101, 0xba62, v85
	v_sub_f16_e32 v86, v54, v43
	v_sub_f16_e32 v66, v24, v42
	s_mov_b32 s16, 0xba62
	v_mul_f16_e32 v84, 0xb8d2, v88
	v_fma_f16 v25, v64, s14, -v101
	v_add_f16_e32 v65, v20, v26
	v_add_f16_e32 v90, v43, v54
	s_mov_b32 s15, 0xb461
	v_mul_f16_e32 v102, 0x3bb2, v86
	v_add_f16_e32 v25, v23, v25
	v_fma_f16 v52, v66, s16, v84
	v_sub_f16_e32 v68, v26, v20
	s_movk_i32 s22, 0x3bb2
	v_mul_f16_e32 v104, 0xb461, v90
	v_fma_f16 v67, v65, s15, -v102
	v_add_f16_e32 v52, v51, v52
	v_add_f16_e32 v25, v67, v25
	v_fma_f16 v67, v68, s22, v104
	v_sub_f16_e32 v87, v55, v44
	v_add_f16_e32 v52, v67, v52
	v_add_f16_e32 v67, v19, v27
	;; [unrolled: 1-line block ×3, first 2 shown]
	s_movk_i32 s17, 0x3b76
	v_mul_f16_e32 v103, 0xb5c8, v87
	v_sub_f16_e32 v70, v27, v19
	s_mov_b32 s19, 0xb5c8
	v_mul_f16_e32 v106, 0x3b76, v92
	v_fma_f16 v69, v67, s17, -v103
	v_add_f16_e32 v25, v69, v25
	v_fma_f16 v69, v70, s19, v106
	v_sub_f16_e32 v89, v56, v45
	v_add_f16_e32 v52, v69, v52
	v_add_f16_e32 v69, v18, v28
	v_add_f16_e32 v94, v45, v56
	s_mov_b32 s18, 0xbacd
	v_mul_f16_e32 v105, 0xb836, v89
	v_sub_f16_e32 v72, v28, v18
	s_mov_b32 s20, 0xb836
	v_mul_f16_e32 v108, 0xbacd, v94
	v_fma_f16 v71, v69, s18, -v105
	v_add_f16_e32 v25, v71, v25
	v_fma_f16 v71, v72, s20, v108
	v_sub_f16_e32 v91, v57, v46
	v_add_f16_e32 v52, v71, v52
	v_add_f16_e32 v71, v17, v29
	v_add_f16_e32 v96, v46, v57
	s_movk_i32 s21, 0x2de8
	v_mul_f16_e32 v107, 0x3bf7, v91
	v_sub_f16_e32 v74, v29, v17
	s_movk_i32 s34, 0x3bf7
	v_mul_f16_e32 v110, 0x2de8, v96
	v_fma_f16 v73, v71, s21, -v107
	v_add_f16_e32 v25, v73, v25
	v_fma_f16 v73, v74, s34, v110
	v_sub_f16_e32 v93, v58, v63
	v_add_f16_e32 v52, v73, v52
	v_add_f16_e32 v73, v35, v30
	;; [unrolled: 1-line block ×3, first 2 shown]
	s_movk_i32 s23, 0x39e9
	v_mul_f16_e32 v109, 0xb964, v93
	v_sub_f16_e32 v76, v30, v35
	s_mov_b32 s25, 0xb964
	v_mul_f16_e32 v112, 0x39e9, v98
	v_fma_f16 v75, v73, s23, -v109
	v_add_f16_e32 v25, v75, v25
	v_fma_f16 v75, v76, s25, v112
	v_sub_f16_e32 v95, v59, v62
	v_add_f16_e32 v52, v75, v52
	v_add_f16_e32 v75, v34, v31
	v_add_f16_e32 v99, v62, v59
	s_mov_b32 s24, 0xbbdd
	v_mul_f16_e32 v111, 0xb1e1, v95
	v_sub_f16_e32 v78, v31, v34
	s_mov_b32 s26, 0xb1e1
	v_mul_f16_e32 v114, 0xbbdd, v99
	v_fma_f16 v77, v75, s24, -v111
	v_add_f16_e32 v25, v77, v25
	v_fma_f16 v77, v78, s26, v114
	v_sub_f16_e32 v97, v60, v61
	v_add_f16_e32 v52, v77, v52
	v_add_f16_e32 v77, v33, v32
	v_add_f16_e32 v100, v61, v60
	s_movk_i32 s27, 0x3722
	v_mul_f16_e32 v113, 0x3b29, v97
	v_sub_f16_e32 v79, v32, v33
	s_movk_i32 s28, 0x3b29
	v_mul_f16_e32 v115, 0x3722, v100
	v_fma_f16 v80, v77, s27, -v113
	v_add_f16_e32 v25, v80, v25
	v_fma_f16 v80, v79, s28, v115
	v_add_f16_e32 v52, v80, v52
	s_barrier
	s_and_saveexec_b64 s[4:5], s[0:1]
	s_cbranch_execz .LBB0_17
; %bb.16:
	v_mul_f16_e32 v116, 0xb8d2, v64
	v_mul_f16_e32 v117, 0xba62, v66
	;; [unrolled: 1-line block ×3, first 2 shown]
	v_add_f16_e32 v101, v116, v101
	v_mul_f16_e32 v119, 0x3bb2, v68
	v_mul_f16_e32 v120, 0x3b76, v67
	v_sub_f16_e32 v84, v84, v117
	v_add_f16_e32 v101, v23, v101
	v_add_f16_e32 v102, v118, v102
	v_mul_f16_e32 v121, 0xb5c8, v70
	v_mul_f16_e32 v122, 0xbacd, v69
	v_add_f16_e32 v84, v51, v84
	v_sub_f16_e32 v104, v104, v119
	v_add_f16_e32 v101, v102, v101
	v_add_f16_e32 v102, v120, v103
	v_mul_f16_e32 v123, 0xb836, v72
	v_mul_f16_e32 v124, 0x2de8, v71
	v_add_f16_e32 v84, v104, v84
	;; [unrolled: 6-line block ×5, first 2 shown]
	v_sub_f16_e32 v104, v112, v127
	v_add_f16_e32 v101, v102, v101
	v_add_f16_e32 v102, v128, v111
	v_mul_f16_e32 v131, 0x3b29, v79
	v_add_f16_e32 v84, v104, v84
	v_sub_f16_e32 v104, v114, v129
	v_add_f16_e32 v101, v102, v101
	v_add_f16_e32 v102, v130, v113
	;; [unrolled: 1-line block ×3, first 2 shown]
	v_sub_f16_e32 v104, v115, v131
	v_add_f16_e32 v101, v102, v101
	v_mul_f16_e32 v102, 0xb461, v88
	v_add_f16_e32 v84, v104, v84
	v_fma_f16 v103, v66, s22, v102
	v_mul_f16_e32 v104, 0xbacd, v90
	v_add_f16_e32 v103, v51, v103
	v_fma_f16 v105, v68, s20, v104
	v_add_f16_e32 v103, v105, v103
	v_mul_f16_e32 v105, 0x39e9, v92
	v_fma_f16 v106, v70, s25, v105
	v_add_f16_e32 v103, v106, v103
	v_mul_f16_e32 v106, 0x3722, v94
	v_fma_f16 v107, v72, s28, v106
	s_movk_i32 s36, 0x31e1
	v_add_f16_e32 v103, v107, v103
	v_mul_f16_e32 v107, 0xbbdd, v96
	v_mul_f16_e32 v132, 0xbbdd, v88
	v_fma_f16 v108, v74, s36, v107
	v_fma_f16 v80, v66, s36, v132
	v_mul_f16_e32 v133, 0x3b76, v90
	s_mov_b32 s30, 0xbbf7
	v_add_f16_e32 v103, v108, v103
	v_mul_f16_e32 v108, 0x2de8, v98
	v_add_f16_e32 v80, v51, v80
	v_fma_f16 v81, v68, s19, v133
	v_mul_f16_e32 v134, 0xbacd, v92
	s_movk_i32 s31, 0x3836
	v_fma_f16 v109, v76, s30, v108
	v_add_f16_e32 v80, v81, v80
	v_fma_f16 v81, v70, s31, v134
	v_mul_f16_e32 v135, 0x39e9, v94
	s_movk_i32 s35, 0x35c8
	v_add_f16_e32 v103, v109, v103
	v_mul_f16_e32 v109, 0x3b76, v99
	v_add_f16_e32 v80, v81, v80
	v_fma_f16 v81, v72, s25, v135
	v_mul_f16_e32 v136, 0xb8d2, v96
	s_movk_i32 s38, 0x3a62
	v_fma_f16 v110, v78, s35, v109
	v_add_f16_e32 v80, v81, v80
	v_fma_f16 v81, v74, s38, v136
	v_mul_f16_e32 v137, 0x3722, v98
	s_mov_b32 s29, 0xbb29
	v_add_f16_e32 v103, v110, v103
	v_mul_f16_e32 v110, 0xb8d2, v100
	v_add_f16_e32 v80, v81, v80
	v_fma_f16 v81, v76, s29, v137
	v_mul_f16_e32 v138, 0xb461, v99
	v_fma_f16 v111, v79, s38, v110
	v_add_f16_e32 v80, v81, v80
	v_fma_f16 v81, v78, s22, v138
	v_mul_f16_e32 v139, 0x2de8, v100
	v_add_f16_e32 v103, v111, v103
	v_mul_f16_e32 v111, 0xbbb2, v85
	v_add_f16_e32 v80, v81, v80
	v_fma_f16 v81, v79, s30, v139
	v_mul_f16_e32 v140, 0xb1e1, v85
	v_fma_f16 v112, v64, s15, v111
	v_mul_f16_e32 v113, 0x3836, v86
	v_add_f16_e32 v80, v81, v80
	v_fma_f16 v81, v64, s24, v140
	v_mul_f16_e32 v141, 0x35c8, v86
	v_add_f16_e32 v112, v23, v112
	v_fma_f16 v114, v65, s18, v113
	v_add_f16_e32 v81, v23, v81
	v_fma_f16 v82, v65, s17, v141
	v_mul_f16_e32 v142, 0xb836, v87
	v_add_f16_e32 v112, v114, v112
	v_mul_f16_e32 v114, 0x3964, v87
	v_add_f16_e32 v81, v82, v81
	v_fma_f16 v82, v67, s18, v142
	v_mul_f16_e32 v143, 0x3964, v89
	v_fma_f16 v115, v67, s23, v114
	v_add_f16_e32 v24, v24, v23
	v_add_f16_e32 v81, v82, v81
	v_fma_f16 v82, v69, s23, v143
	v_mul_f16_e32 v144, 0xba62, v91
	v_add_f16_e32 v112, v115, v112
	v_mul_f16_e32 v115, 0xbb29, v89
	v_add_f16_e32 v24, v26, v24
	v_add_f16_e32 v81, v82, v81
	v_fma_f16 v82, v71, s14, v144
	v_mul_f16_e32 v145, 0x3b29, v93
	v_fma_f16 v116, v69, s27, v115
	v_add_f16_e32 v24, v27, v24
	v_add_f16_e32 v81, v82, v81
	v_fma_f16 v82, v73, s27, v145
	v_mul_f16_e32 v146, 0xbbb2, v95
	v_add_f16_e32 v112, v116, v112
	v_mul_f16_e32 v116, 0xb1e1, v91
	v_add_f16_e32 v24, v28, v24
	;; [unrolled: 11-line block ×6, first 2 shown]
	v_add_f16_e32 v82, v83, v82
	v_fma_f16 v83, v78, s25, v154
	v_mul_f16_e32 v155, 0xb461, v100
	v_fma_f16 v121, v66, s34, v120
	v_mul_f16_e32 v122, 0xbbdd, v90
	v_add_f16_e32 v17, v18, v17
	v_add_f16_e32 v82, v83, v82
	v_fma_f16 v83, v79, s22, v155
	v_mul_f16_e32 v156, 0xb836, v85
	v_add_f16_e32 v121, v51, v121
	v_fma_f16 v123, v68, s36, v122
	v_add_f16_e32 v17, v19, v17
	v_fma_f16 v19, v66, s26, v132
	s_mov_b32 s33, 0xbbb2
	v_add_f16_e32 v82, v83, v82
	v_fma_f16 v83, v64, s18, v156
	v_mul_f16_e32 v157, 0x3b29, v86
	v_add_f16_e32 v121, v123, v121
	v_mul_f16_e32 v123, 0xb461, v92
	v_add_f16_e32 v17, v20, v17
	v_add_f16_e32 v19, v51, v19
	v_fma_f16 v20, v68, s35, v133
	s_movk_i32 s37, 0x3964
	v_add_f16_e32 v83, v23, v83
	v_fma_f16 v158, v65, s27, v157
	v_fma_f16 v124, v70, s33, v123
	v_add_f16_e32 v19, v20, v19
	v_fma_f16 v20, v70, s20, v134
	v_add_f16_e32 v83, v158, v83
	v_mul_f16_e32 v158, 0xbbf7, v87
	v_add_f16_e32 v121, v124, v121
	v_mul_f16_e32 v124, 0x3b76, v94
	v_add_f16_e32 v19, v20, v19
	v_fma_f16 v20, v72, s37, v135
	v_fma_f16 v159, v67, s21, v158
	v_fma_f16 v125, v72, s19, v124
	v_add_f16_e32 v19, v20, v19
	v_fma_f16 v20, v74, s16, v136
	v_add_f16_e32 v83, v159, v83
	v_mul_f16_e32 v159, 0x3a62, v89
	v_add_f16_e32 v121, v125, v121
	v_mul_f16_e32 v125, 0x3722, v96
	v_add_f16_e32 v19, v20, v19
	v_fma_f16 v20, v76, s28, v137
	;; [unrolled: 10-line block ×3, first 2 shown]
	v_fma_f16 v161, v71, s17, v160
	v_fma_f16 v127, v76, s31, v126
	v_add_f16_e32 v19, v20, v19
	v_fma_f16 v20, v64, s24, -v140
	v_add_f16_e32 v83, v161, v83
	v_mul_f16_e32 v161, 0xb1e1, v93
	v_add_f16_e32 v121, v127, v121
	v_mul_f16_e32 v127, 0xb8d2, v99
	v_add_f16_e32 v20, v23, v20
	v_fma_f16 v24, v65, s17, -v141
	v_fma_f16 v162, v73, s24, v161
	v_fma_f16 v128, v78, s16, v127
	v_add_f16_e32 v20, v24, v20
	v_fma_f16 v24, v67, s18, -v142
	v_add_f16_e32 v83, v162, v83
	v_mul_f16_e32 v162, 0x3964, v95
	v_add_f16_e32 v121, v128, v121
	v_mul_f16_e32 v128, 0x39e9, v100
	v_add_f16_e32 v20, v24, v20
	v_fma_f16 v24, v69, s23, -v143
	;; [unrolled: 10-line block ×3, first 2 shown]
	v_fma_f16 v164, v77, s15, v163
	v_fma_f16 v130, v64, s21, v129
	v_mul_f16_e32 v131, 0xb1e1, v86
	v_add_f16_e32 v20, v24, v20
	v_fma_f16 v24, v75, s15, -v146
	v_add_f16_e32 v83, v164, v83
	v_add_f16_e32 v130, v23, v130
	v_fma_f16 v164, v65, s24, v131
	v_add_f16_e32 v20, v24, v20
	v_fma_f16 v24, v77, s21, -v147
	v_add_f16_e32 v130, v164, v130
	v_mul_f16_e32 v164, 0x3bb2, v87
	v_add_f16_e32 v20, v24, v20
	v_fma_f16 v24, v66, s20, v148
	v_fma_f16 v165, v67, s15, v164
	v_add_f16_e32 v24, v51, v24
	v_fma_f16 v26, v68, s28, v149
	v_add_f16_e32 v130, v165, v130
	v_mul_f16_e32 v165, 0x35c8, v89
	v_add_f16_e32 v24, v26, v24
	v_fma_f16 v26, v70, s30, v150
	v_fma_f16 v166, v69, s17, v165
	v_add_f16_e32 v24, v26, v24
	v_fma_f16 v26, v72, s38, v151
	;; [unrolled: 7-line block ×4, first 2 shown]
	v_add_f16_e32 v130, v168, v130
	v_mul_f16_e32 v168, 0x3a62, v95
	v_add_f16_e32 v24, v26, v24
	v_fma_f16 v26, v64, s18, -v156
	v_fma_f16 v169, v75, s14, v168
	v_add_f16_e32 v26, v23, v26
	v_fma_f16 v27, v65, s27, -v157
	v_add_f16_e32 v130, v169, v130
	v_mul_f16_e32 v169, 0x3964, v97
	v_add_f16_e32 v26, v27, v26
	v_fma_f16 v27, v67, s21, -v158
	v_fma_f16 v170, v77, s23, v169
	v_add_f16_e32 v26, v27, v26
	v_fma_f16 v27, v69, s14, -v159
	v_add_f16_e32 v130, v170, v130
	v_mul_f16_e32 v170, 0x3722, v88
	v_add_f16_e32 v26, v27, v26
	v_fma_f16 v27, v71, s17, -v160
	v_fma_f16 v171, v66, s28, v170
	v_mul_f16_e32 v172, 0xb8d2, v90
	v_add_f16_e32 v26, v27, v26
	v_fma_f16 v27, v73, s24, -v161
	v_add_f16_e32 v171, v51, v171
	v_fma_f16 v173, v68, s38, v172
	v_add_f16_e32 v26, v27, v26
	v_fma_f16 v27, v75, s23, -v162
	v_add_f16_e32 v171, v173, v171
	v_mul_f16_e32 v173, 0xbbdd, v92
	v_add_f16_e32 v26, v27, v26
	v_fma_f16 v27, v77, s15, -v163
	v_fma_f16 v174, v70, s26, v173
	v_add_f16_e32 v26, v27, v26
	v_fma_f16 v27, v66, s33, v102
	v_add_f16_e32 v171, v174, v171
	v_mul_f16_e32 v174, 0xb461, v94
	v_add_f16_e32 v27, v51, v27
	v_fma_f16 v28, v68, s31, v104
	v_fma_f16 v175, v72, s33, v174
	v_add_f16_e32 v27, v28, v27
	v_fma_f16 v28, v70, s37, v105
	v_add_f16_e32 v171, v175, v171
	v_mul_f16_e32 v175, 0x39e9, v96
	v_add_f16_e32 v27, v28, v27
	v_fma_f16 v28, v72, s29, v106
	;; [unrolled: 7-line block ×4, first 2 shown]
	v_fma_f16 v178, v78, s34, v177
	v_add_f16_e32 v27, v28, v27
	v_fma_f16 v28, v64, s15, -v111
	v_add_f16_e32 v171, v178, v171
	v_mul_f16_e32 v178, 0xbacd, v100
	v_add_f16_e32 v28, v23, v28
	v_fma_f16 v29, v65, s18, -v113
	v_fma_f16 v179, v79, s31, v178
	v_add_f16_e32 v28, v29, v28
	v_fma_f16 v29, v67, s23, -v114
	v_add_f16_e32 v171, v179, v171
	v_mul_f16_e32 v179, 0xbb29, v85
	v_add_f16_e32 v28, v29, v28
	v_fma_f16 v29, v69, s27, -v115
	v_fma_f16 v180, v64, s27, v179
	v_mul_f16_e32 v181, 0xba62, v86
	v_add_f16_e32 v28, v29, v28
	v_fma_f16 v29, v71, s24, -v116
	v_add_f16_e32 v180, v23, v180
	v_fma_f16 v182, v65, s14, v181
	v_add_f16_e32 v28, v29, v28
	v_fma_f16 v29, v73, s21, -v117
	v_add_f16_e32 v180, v182, v180
	v_mul_f16_e32 v182, 0x31e1, v87
	v_add_f16_e32 v28, v29, v28
	v_fma_f16 v29, v75, s17, -v118
	v_fma_f16 v183, v67, s24, v182
	v_add_f16_e32 v28, v29, v28
	v_fma_f16 v29, v77, s14, -v119
	v_add_f16_e32 v180, v183, v180
	v_mul_f16_e32 v183, 0x3bb2, v89
	v_add_f16_e32 v28, v29, v28
	v_fma_f16 v29, v66, s30, v120
	v_fma_f16 v184, v69, s15, v183
	v_add_f16_e32 v29, v51, v29
	v_fma_f16 v30, v68, s26, v122
	v_add_f16_e32 v180, v184, v180
	v_mul_f16_e32 v184, 0x3964, v91
	v_add_f16_e32 v29, v30, v29
	v_fma_f16 v30, v70, s22, v123
	v_fma_f16 v185, v71, s23, v184
	v_add_f16_e32 v29, v30, v29
	v_fma_f16 v30, v72, s35, v124
	;; [unrolled: 7-line block ×4, first 2 shown]
	v_add_f16_e32 v180, v187, v180
	v_mul_f16_e32 v187, 0xb836, v97
	v_add_f16_e32 v29, v30, v29
	v_fma_f16 v30, v64, s21, -v129
	v_fma_f16 v188, v77, s18, v187
	v_add_f16_e32 v30, v23, v30
	v_fma_f16 v31, v65, s24, -v131
	v_add_f16_e32 v180, v188, v180
	v_mul_f16_e32 v188, 0x39e9, v88
	v_add_f16_e32 v30, v31, v30
	v_fma_f16 v31, v67, s15, -v164
	v_fma_f16 v189, v66, s37, v188
	v_mul_f16_e32 v190, 0x2de8, v90
	v_add_f16_e32 v30, v31, v30
	v_fma_f16 v31, v69, s17, -v165
	v_add_f16_e32 v189, v51, v189
	v_fma_f16 v191, v68, s34, v190
	v_add_f16_e32 v30, v31, v30
	v_fma_f16 v31, v71, s27, -v166
	v_add_f16_e32 v189, v191, v189
	v_mul_f16_e32 v191, 0xb8d2, v92
	v_add_f16_e32 v30, v31, v30
	v_fma_f16 v31, v73, s18, -v167
	v_fma_f16 v192, v70, s38, v191
	v_add_f16_e32 v30, v31, v30
	v_fma_f16 v31, v75, s14, -v168
	v_add_f16_e32 v189, v192, v189
	v_mul_f16_e32 v192, 0xbbdd, v94
	v_add_f16_e32 v30, v31, v30
	v_fma_f16 v31, v77, s23, -v169
	v_fma_f16 v193, v72, s36, v192
	v_add_f16_e32 v30, v31, v30
	v_fma_f16 v31, v66, s29, v170
	v_add_f16_e32 v189, v193, v189
	v_mul_f16_e32 v193, 0xbacd, v96
	v_add_f16_e32 v31, v51, v31
	v_fma_f16 v32, v68, s16, v172
	v_fma_f16 v194, v74, s20, v193
	v_add_f16_e32 v31, v32, v31
	v_fma_f16 v32, v70, s36, v173
	v_add_f16_e32 v189, v194, v189
	v_mul_f16_e32 v194, 0xb461, v98
	v_add_f16_e32 v31, v32, v31
	v_fma_f16 v32, v72, s22, v174
	;; [unrolled: 7-line block ×4, first 2 shown]
	v_fma_f16 v197, v79, s19, v196
	v_add_f16_e32 v31, v32, v31
	v_fma_f16 v32, v64, s27, -v179
	v_add_f16_e32 v189, v197, v189
	v_mul_f16_e32 v197, 0xb964, v85
	v_add_f16_e32 v32, v23, v32
	v_fma_f16 v33, v65, s14, -v181
	v_fma_f16 v198, v64, s23, v197
	v_mul_f16_e32 v199, 0xbbf7, v86
	v_add_f16_e32 v32, v33, v32
	v_fma_f16 v33, v67, s24, -v182
	v_add_f16_e32 v198, v23, v198
	v_fma_f16 v200, v65, s21, v199
	v_add_f16_e32 v32, v33, v32
	v_fma_f16 v33, v69, s15, -v183
	v_add_f16_e32 v198, v200, v198
	v_mul_f16_e32 v200, 0xba62, v87
	v_add_f16_e32 v32, v33, v32
	v_fma_f16 v33, v71, s23, -v184
	v_fma_f16 v201, v67, s14, v200
	v_add_f16_e32 v32, v33, v32
	v_fma_f16 v33, v73, s17, -v185
	v_add_f16_e32 v198, v201, v198
	v_mul_f16_e32 v201, 0xb1e1, v89
	v_add_f16_e32 v32, v33, v32
	v_fma_f16 v33, v75, s21, -v186
	v_fma_f16 v202, v69, s24, v201
	v_add_f16_e32 v32, v33, v32
	v_fma_f16 v33, v77, s18, -v187
	v_add_f16_e32 v198, v202, v198
	v_mul_f16_e32 v202, 0x3836, v91
	v_add_f16_e32 v32, v33, v32
	v_fma_f16 v33, v66, s25, v188
	v_fma_f16 v203, v71, s18, v202
	v_add_f16_e32 v33, v51, v33
	v_fma_f16 v34, v68, s30, v190
	v_add_f16_e32 v198, v203, v198
	v_mul_f16_e32 v203, 0x3bb2, v93
	v_add_f16_e32 v33, v34, v33
	v_fma_f16 v34, v70, s16, v191
	v_fma_f16 v204, v73, s15, v203
	v_add_f16_e32 v33, v34, v33
	v_fma_f16 v34, v72, s26, v192
	;; [unrolled: 7-line block ×3, first 2 shown]
	v_add_f16_e32 v198, v205, v198
	v_mul_f16_e32 v205, 0x35c8, v97
	v_add_f16_e32 v33, v34, v33
	v_fma_f16 v34, v78, s28, v195
	v_fma_f16 v206, v77, s17, v205
	v_mul_f16_e32 v88, 0x3b76, v88
	v_add_f16_e32 v33, v34, v33
	v_fma_f16 v34, v79, s35, v196
	v_add_f16_e32 v198, v206, v198
	v_fma_f16 v206, v66, s35, v88
	v_mul_f16_e32 v90, 0x39e9, v90
	v_add_f16_e32 v33, v34, v33
	v_fma_f16 v34, v64, s23, -v197
	v_add_f16_e32 v206, v51, v206
	v_fma_f16 v207, v68, s37, v90
	v_mul_f16_e32 v92, 0x3722, v92
	v_add_f16_e32 v18, v53, v51
	v_add_f16_e32 v34, v23, v34
	v_fma_f16 v35, v65, s21, -v199
	v_add_f16_e32 v206, v207, v206
	v_fma_f16 v207, v70, s28, v92
	v_mul_f16_e32 v94, 0x2de8, v94
	v_add_f16_e32 v18, v54, v18
	;; [unrolled: 6-line block ×8, first 2 shown]
	v_add_f16_e32 v34, v35, v34
	v_fma_f16 v35, v66, s19, v88
	v_add_f16_e32 v207, v23, v207
	v_fma_f16 v208, v65, s23, v86
	v_mul_f16_e32 v87, 0xbb29, v87
	v_add_f16_e32 v17, v42, v17
	v_add_f16_e32 v18, v61, v18
	;; [unrolled: 1-line block ×3, first 2 shown]
	v_fma_f16 v42, v68, s25, v90
	v_add_f16_e32 v207, v208, v207
	v_fma_f16 v208, v67, s27, v87
	v_mul_f16_e32 v89, 0xbbf7, v89
	v_add_f16_e32 v18, v62, v18
	v_add_f16_e32 v35, v42, v35
	v_fma_f16 v42, v70, s29, v92
	v_add_f16_e32 v207, v208, v207
	v_fma_f16 v208, v69, s21, v89
	v_mul_f16_e32 v91, 0xbbb2, v91
	v_add_f16_e32 v18, v63, v18
	v_add_f16_e32 v35, v42, v35
	v_fma_f16 v42, v72, s30, v94
	v_add_f16_e32 v207, v208, v207
	v_fma_f16 v208, v71, s15, v91
	v_mul_f16_e32 v93, 0xba62, v93
	v_add_f16_e32 v18, v46, v18
	v_add_f16_e32 v35, v42, v35
	v_fma_f16 v42, v74, s33, v96
	v_add_f16_e32 v207, v208, v207
	v_fma_f16 v208, v73, s14, v93
	v_mul_f16_e32 v95, 0xb836, v95
	v_add_f16_e32 v18, v45, v18
	v_add_f16_e32 v35, v42, v35
	v_fma_f16 v42, v76, s16, v98
	v_add_f16_e32 v207, v208, v207
	v_fma_f16 v208, v75, s18, v95
	v_mul_f16_e32 v97, 0xb1e1, v97
	v_add_f16_e32 v18, v44, v18
	v_add_f16_e32 v35, v42, v35
	v_fma_f16 v42, v78, s20, v99
	v_add_f16_e32 v207, v208, v207
	v_fma_f16 v208, v77, s24, v97
	v_add_f16_e32 v18, v43, v18
	v_add_f16_e32 v35, v42, v35
	v_fma_f16 v42, v79, s26, v100
	v_add_f16_e32 v207, v208, v207
	v_add_f16_e32 v18, v47, v18
	;; [unrolled: 1-line block ×3, first 2 shown]
	v_fma_f16 v42, v64, s17, -v85
	v_add_f16_e32 v23, v23, v42
	v_fma_f16 v42, v65, s23, -v86
	v_lshl_add_u32 v39, v40, 2, v39
	v_pack_b32_f16 v40, v207, v206
	v_pack_b32_f16 v17, v17, v18
	v_add_f16_e32 v23, v42, v23
	v_fma_f16 v42, v67, s27, -v87
	ds_write2_b32 v39, v17, v40 offset1:1
	v_pack_b32_f16 v17, v180, v171
	v_pack_b32_f16 v18, v198, v189
	v_add_f16_e32 v23, v42, v23
	v_fma_f16 v42, v69, s21, -v89
	ds_write2_b32 v39, v18, v17 offset0:2 offset1:3
	v_pack_b32_f16 v17, v112, v103
	v_pack_b32_f16 v18, v130, v121
	v_add_f16_e32 v23, v42, v23
	v_fma_f16 v42, v71, s15, -v91
	ds_write2_b32 v39, v18, v17 offset0:4 offset1:5
	;; [unrolled: 5-line block ×3, first 2 shown]
	v_pack_b32_f16 v17, v20, v19
	v_pack_b32_f16 v18, v81, v80
	s_mov_b32 s14, 0x5040100
	v_add_f16_e32 v23, v42, v23
	v_fma_f16 v42, v75, s18, -v95
	ds_write2_b32 v39, v18, v17 offset0:8 offset1:9
	v_pack_b32_f16 v17, v26, v24
	v_perm_b32 v18, v52, v25, s14
	v_add_f16_e32 v23, v42, v23
	v_fma_f16 v42, v77, s24, -v97
	ds_write2_b32 v39, v17, v18 offset0:10 offset1:11
	v_pack_b32_f16 v17, v30, v29
	v_pack_b32_f16 v18, v28, v27
	v_add_f16_e32 v23, v42, v23
	ds_write2_b32 v39, v18, v17 offset0:12 offset1:13
	v_pack_b32_f16 v17, v34, v33
	v_pack_b32_f16 v18, v32, v31
	ds_write2_b32 v39, v18, v17 offset0:14 offset1:15
	v_pack_b32_f16 v17, v23, v35
	ds_write_b32 v39, v17 offset:64
.LBB0_17:
	s_or_b64 exec, exec, s[4:5]
	s_waitcnt lgkmcnt(0)
	s_barrier
	ds_read2_b32 v[17:18], v41 offset1:102
	v_add_u32_e32 v19, 0x200, v41
	ds_read2_b32 v[19:20], v19 offset0:76 offset1:178
	v_add_u32_e32 v23, 0x400, v41
	ds_read2_b32 v[23:24], v23 offset0:152 offset1:254
	s_waitcnt lgkmcnt(2)
	v_lshrrev_b32_e32 v30, 16, v18
	v_mul_f16_sdwa v45, v0, v30 dst_sel:DWORD dst_unused:UNUSED_PAD src0_sel:WORD_1 src1_sel:DWORD
	s_waitcnt lgkmcnt(1)
	v_lshrrev_b32_e32 v31, 16, v19
	v_fma_f16 v45, v0, v18, v45
	v_mul_f16_sdwa v18, v0, v18 dst_sel:DWORD dst_unused:UNUSED_PAD src0_sel:WORD_1 src1_sel:DWORD
	v_fma_f16 v0, v0, v30, -v18
	v_mul_f16_sdwa v18, v1, v31 dst_sel:DWORD dst_unused:UNUSED_PAD src0_sel:WORD_1 src1_sel:DWORD
	v_lshrrev_b32_e32 v32, 16, v20
	v_add_u32_e32 v26, 0x800, v41
	v_fma_f16 v18, v1, v19, v18
	v_mul_f16_sdwa v19, v1, v19 dst_sel:DWORD dst_unused:UNUSED_PAD src0_sel:WORD_1 src1_sel:DWORD
	ds_read2_b32 v[26:27], v26 offset0:100 offset1:202
	v_fma_f16 v1, v1, v31, -v19
	v_mul_f16_sdwa v19, v2, v32 dst_sel:DWORD dst_unused:UNUSED_PAD src0_sel:WORD_1 src1_sel:DWORD
	s_waitcnt lgkmcnt(1)
	v_lshrrev_b32_e32 v33, 16, v23
	v_fma_f16 v19, v2, v20, v19
	v_mul_f16_sdwa v20, v2, v20 dst_sel:DWORD dst_unused:UNUSED_PAD src0_sel:WORD_1 src1_sel:DWORD
	v_fma_f16 v2, v2, v32, -v20
	v_mul_f16_sdwa v20, v3, v33 dst_sel:DWORD dst_unused:UNUSED_PAD src0_sel:WORD_1 src1_sel:DWORD
	v_add_u32_e32 v28, 0xc00, v41
	v_lshrrev_b32_e32 v34, 16, v24
	v_fma_f16 v20, v3, v23, v20
	v_mul_f16_sdwa v23, v3, v23 dst_sel:DWORD dst_unused:UNUSED_PAD src0_sel:WORD_1 src1_sel:DWORD
	ds_read2_b32 v[28:29], v28 offset0:48 offset1:150
	v_fma_f16 v3, v3, v33, -v23
	v_mul_f16_sdwa v23, v4, v34 dst_sel:DWORD dst_unused:UNUSED_PAD src0_sel:WORD_1 src1_sel:DWORD
	s_waitcnt lgkmcnt(1)
	v_lshrrev_b32_e32 v39, 16, v26
	v_fma_f16 v23, v4, v24, v23
	v_mul_f16_sdwa v24, v4, v24 dst_sel:DWORD dst_unused:UNUSED_PAD src0_sel:WORD_1 src1_sel:DWORD
	v_fma_f16 v4, v4, v34, -v24
	v_mul_f16_sdwa v24, v5, v39 dst_sel:DWORD dst_unused:UNUSED_PAD src0_sel:WORD_1 src1_sel:DWORD
	v_lshrrev_b32_e32 v40, 16, v27
	v_fma_f16 v24, v5, v26, v24
	v_mul_f16_sdwa v26, v5, v26 dst_sel:DWORD dst_unused:UNUSED_PAD src0_sel:WORD_1 src1_sel:DWORD
	ds_read_b32 v35, v41 offset:4080
	v_fma_f16 v5, v5, v39, -v26
	v_mul_f16_sdwa v26, v6, v40 dst_sel:DWORD dst_unused:UNUSED_PAD src0_sel:WORD_1 src1_sel:DWORD
	s_waitcnt lgkmcnt(1)
	v_lshrrev_b32_e32 v42, 16, v28
	v_fma_f16 v26, v6, v27, v26
	v_mul_f16_sdwa v27, v6, v27 dst_sel:DWORD dst_unused:UNUSED_PAD src0_sel:WORD_1 src1_sel:DWORD
	v_fma_f16 v6, v6, v40, -v27
	v_mul_f16_sdwa v27, v7, v42 dst_sel:DWORD dst_unused:UNUSED_PAD src0_sel:WORD_1 src1_sel:DWORD
	v_lshrrev_b32_e32 v43, 16, v29
	v_fma_f16 v27, v7, v28, v27
	v_mul_f16_sdwa v28, v7, v28 dst_sel:DWORD dst_unused:UNUSED_PAD src0_sel:WORD_1 src1_sel:DWORD
	v_fma_f16 v7, v7, v42, -v28
	v_mul_f16_sdwa v28, v21, v43 dst_sel:DWORD dst_unused:UNUSED_PAD src0_sel:WORD_1 src1_sel:DWORD
	s_waitcnt lgkmcnt(0)
	v_lshrrev_b32_e32 v44, 16, v35
	v_fma_f16 v28, v21, v29, v28
	v_mul_f16_sdwa v29, v21, v29 dst_sel:DWORD dst_unused:UNUSED_PAD src0_sel:WORD_1 src1_sel:DWORD
	v_fma_f16 v21, v21, v43, -v29
	v_mul_f16_sdwa v29, v22, v44 dst_sel:DWORD dst_unused:UNUSED_PAD src0_sel:WORD_1 src1_sel:DWORD
	v_mul_f16_sdwa v30, v22, v35 dst_sel:DWORD dst_unused:UNUSED_PAD src0_sel:WORD_1 src1_sel:DWORD
	v_fma_f16 v29, v22, v35, v29
	v_fma_f16 v22, v22, v44, -v30
	v_add_f16_e32 v30, v17, v45
	v_add_f16_sdwa v31, v17, v0 dst_sel:DWORD dst_unused:UNUSED_PAD src0_sel:WORD_1 src1_sel:DWORD
	v_add_f16_e32 v30, v30, v18
	v_add_f16_e32 v31, v31, v1
	;; [unrolled: 1-line block ×17, first 2 shown]
	v_sub_f16_e32 v0, v0, v22
	v_add_f16_e32 v30, v30, v29
	v_add_f16_e32 v31, v31, v22
	;; [unrolled: 1-line block ×3, first 2 shown]
	v_sub_f16_e32 v29, v45, v29
	s_mov_b32 s17, 0xb853
	v_mul_f16_e32 v22, 0xb853, v0
	s_movk_i32 s18, 0x3abb
	v_mul_f16_e32 v35, 0x3abb, v33
	s_movk_i32 s19, 0x3853
	s_mov_b32 s5, 0xbb47
	v_mul_f16_e32 v40, 0xbb47, v0
	s_movk_i32 s14, 0x36a6
	v_mul_f16_e32 v43, 0x36a6, v33
	s_movk_i32 s15, 0x3b47
	s_mov_b32 s4, 0xbbeb
	v_mul_f16_e32 v45, 0xbbeb, v0
	s_mov_b32 s16, 0xb08e
	v_mul_f16_e32 v47, 0xb08e, v33
	s_movk_i32 s20, 0x3beb
	s_mov_b32 s21, 0xba0c
	v_mul_f16_e32 v53, 0xba0c, v0
	s_mov_b32 s22, 0xb93d
	v_mul_f16_e32 v55, 0xb93d, v33
	s_movk_i32 s23, 0x3a0c
	s_mov_b32 s24, 0xb482
	v_mul_f16_e32 v0, 0xb482, v0
	s_mov_b32 s25, 0xbbad
	v_mul_f16_e32 v33, 0xbbad, v33
	s_movk_i32 s26, 0x3482
	v_fma_f16 v34, v32, s18, v22
	v_fma_f16 v39, v29, s19, v35
	v_fma_f16 v22, v32, s18, -v22
	v_fma_f16 v35, v29, s17, v35
	v_fma_f16 v42, v32, s14, v40
	v_fma_f16 v44, v29, s15, v43
	v_fma_f16 v40, v32, s14, -v40
	v_fma_f16 v43, v29, s5, v43
	;; [unrolled: 4-line block ×5, first 2 shown]
	v_add_f16_e32 v32, v1, v21
	v_sub_f16_e32 v1, v1, v21
	v_add_f16_e32 v34, v17, v34
	v_add_f16_sdwa v39, v17, v39 dst_sel:DWORD dst_unused:UNUSED_PAD src0_sel:WORD_1 src1_sel:DWORD
	v_add_f16_e32 v22, v17, v22
	v_add_f16_sdwa v35, v17, v35 dst_sel:DWORD dst_unused:UNUSED_PAD src0_sel:WORD_1 src1_sel:DWORD
	;; [unrolled: 2-line block ×10, first 2 shown]
	v_add_f16_e32 v29, v18, v28
	v_mul_f16_e32 v21, 0xbb47, v1
	v_sub_f16_e32 v18, v18, v28
	v_fma_f16 v28, v29, s14, v21
	v_mul_f16_e32 v33, 0x36a6, v32
	v_fma_f16 v21, v29, s14, -v21
	v_add_f16_e32 v28, v28, v34
	v_fma_f16 v34, v18, s15, v33
	v_add_f16_e32 v21, v21, v22
	v_fma_f16 v22, v18, s5, v33
	v_mul_f16_e32 v33, 0xba0c, v1
	v_add_f16_e32 v34, v34, v39
	v_add_f16_e32 v22, v22, v35
	v_fma_f16 v35, v29, s22, v33
	v_mul_f16_e32 v39, 0xb93d, v32
	v_fma_f16 v33, v29, s22, -v33
	v_add_f16_e32 v35, v35, v42
	v_fma_f16 v42, v18, s23, v39
	v_add_f16_e32 v33, v33, v40
	v_fma_f16 v39, v18, s21, v39
	v_mul_f16_e32 v40, 0x3482, v1
	v_add_f16_e32 v42, v42, v44
	v_add_f16_e32 v39, v39, v43
	;; [unrolled: 10-line block ×3, first 2 shown]
	v_fma_f16 v47, v29, s16, v45
	v_mul_f16_e32 v51, 0xb08e, v32
	v_fma_f16 v45, v29, s16, -v45
	v_mul_f16_e32 v1, 0x3853, v1
	v_add_f16_e32 v47, v47, v54
	v_fma_f16 v54, v18, s4, v51
	v_add_f16_e32 v45, v45, v53
	v_fma_f16 v51, v18, s20, v51
	v_fma_f16 v53, v29, s18, v1
	v_mul_f16_e32 v32, 0x3abb, v32
	v_fma_f16 v1, v29, s18, -v1
	v_add_f16_e32 v51, v51, v55
	v_fma_f16 v55, v18, s17, v32
	v_add_f16_e32 v0, v1, v0
	v_fma_f16 v1, v18, s19, v32
	v_add_f16_e32 v18, v2, v7
	v_sub_f16_e32 v2, v2, v7
	v_add_f16_e32 v1, v1, v17
	v_add_f16_e32 v17, v19, v27
	v_mul_f16_e32 v7, 0xbbeb, v2
	v_sub_f16_e32 v19, v19, v27
	v_fma_f16 v27, v17, s16, v7
	v_add_f16_e32 v27, v27, v28
	v_mul_f16_e32 v28, 0xb08e, v18
	v_fma_f16 v7, v17, s16, -v7
	v_add_f16_e32 v7, v7, v21
	v_fma_f16 v21, v19, s4, v28
	v_add_f16_e32 v21, v21, v22
	v_mul_f16_e32 v22, 0x3482, v2
	v_fma_f16 v29, v19, s20, v28
	v_fma_f16 v28, v17, s25, v22
	v_fma_f16 v22, v17, s25, -v22
	v_mul_f16_e32 v32, 0xbbad, v18
	v_add_f16_e32 v22, v22, v33
	v_mul_f16_e32 v33, 0x3b47, v2
	v_add_f16_e32 v29, v29, v34
	v_add_f16_e32 v28, v28, v35
	v_fma_f16 v34, v19, s24, v32
	v_fma_f16 v32, v19, s26, v32
	;; [unrolled: 1-line block ×3, first 2 shown]
	v_fma_f16 v33, v17, s14, -v33
	v_add_f16_e32 v32, v32, v39
	v_mul_f16_e32 v39, 0x36a6, v18
	v_add_f16_e32 v33, v33, v40
	v_mul_f16_e32 v40, 0xb853, v2
	v_add_f16_e32 v34, v34, v42
	v_add_f16_e32 v35, v35, v43
	v_fma_f16 v42, v19, s5, v39
	v_fma_f16 v39, v19, s15, v39
	;; [unrolled: 1-line block ×3, first 2 shown]
	v_fma_f16 v40, v17, s18, -v40
	v_mul_f16_e32 v2, 0xba0c, v2
	v_add_f16_e32 v39, v39, v44
	v_mul_f16_e32 v44, 0x3abb, v18
	v_add_f16_e32 v40, v40, v45
	v_fma_f16 v45, v17, s22, v2
	v_mul_f16_e32 v18, 0xb93d, v18
	v_fma_f16 v2, v17, s22, -v2
	v_add_f16_e32 v0, v2, v0
	v_fma_f16 v2, v19, s21, v18
	v_add_f16_e32 v17, v3, v6
	v_sub_f16_e32 v3, v3, v6
	v_add_f16_e32 v1, v2, v1
	v_add_f16_e32 v2, v20, v26
	v_mul_f16_e32 v6, 0xba0c, v3
	v_add_f16_e32 v42, v42, v46
	v_add_f16_e32 v43, v43, v47
	v_fma_f16 v46, v19, s19, v44
	v_fma_f16 v44, v19, s17, v44
	;; [unrolled: 1-line block ×3, first 2 shown]
	v_sub_f16_e32 v18, v20, v26
	v_fma_f16 v19, v2, s22, v6
	v_mul_f16_e32 v20, 0xb93d, v17
	v_fma_f16 v6, v2, s22, -v6
	v_fma_f16 v26, v18, s23, v20
	v_add_f16_e32 v6, v6, v7
	v_fma_f16 v7, v18, s21, v20
	v_mul_f16_e32 v20, 0x3beb, v3
	v_add_f16_e32 v19, v19, v27
	v_add_f16_e32 v7, v7, v21
	v_fma_f16 v21, v2, s16, v20
	v_mul_f16_e32 v27, 0xb08e, v17
	v_fma_f16 v20, v2, s16, -v20
	v_add_f16_e32 v22, v20, v22
	v_fma_f16 v20, v18, s20, v27
	v_add_f16_e32 v21, v21, v28
	v_fma_f16 v28, v18, s4, v27
	v_add_f16_e32 v27, v20, v32
	v_mul_f16_e32 v20, 0xb853, v3
	v_add_f16_e32 v26, v26, v29
	v_fma_f16 v29, v2, s18, v20
	v_mul_f16_e32 v32, 0x3abb, v17
	v_fma_f16 v20, v2, s18, -v20
	v_add_f16_e32 v33, v20, v33
	v_fma_f16 v20, v18, s17, v32
	v_add_f16_e32 v28, v28, v34
	v_fma_f16 v34, v18, s19, v32
	v_add_f16_e32 v32, v20, v39
	v_mul_f16_e32 v20, 0xb482, v3
	v_add_f16_e32 v29, v29, v35
	v_fma_f16 v35, v2, s25, v20
	v_mul_f16_e32 v39, 0xbbad, v17
	v_fma_f16 v20, v2, s25, -v20
	v_add_f16_e32 v53, v53, v57
	v_add_f16_e32 v44, v44, v51
	;; [unrolled: 1-line block ×3, first 2 shown]
	v_fma_f16 v20, v18, s24, v39
	v_mul_f16_e32 v3, 0x3b47, v3
	v_add_f16_e32 v45, v45, v53
	v_add_f16_e32 v34, v34, v42
	v_fma_f16 v42, v18, s26, v39
	v_add_f16_e32 v39, v20, v44
	v_fma_f16 v20, v2, s14, v3
	v_mul_f16_e32 v17, 0x36a6, v17
	v_fma_f16 v2, v2, s14, -v3
	v_add_f16_e32 v35, v35, v43
	v_add_f16_e32 v43, v20, v45
	;; [unrolled: 1-line block ×3, first 2 shown]
	v_fma_f16 v2, v18, s15, v17
	v_add_f16_e32 v45, v4, v5
	v_sub_f16_e32 v4, v4, v5
	v_add_f16_e32 v54, v54, v56
	v_fma_f16 v20, v18, s5, v17
	v_add_f16_e32 v17, v2, v1
	v_add_f16_e32 v18, v23, v24
	v_mul_f16_e32 v1, 0xb482, v4
	v_add_f16_e32 v46, v46, v54
	v_fma_f16 v2, v18, s25, v1
	v_add_f16_e32 v55, v55, v58
	v_add_f16_e32 v42, v42, v46
	v_sub_f16_e32 v46, v23, v24
	v_add_f16_e32 v5, v2, v19
	v_mul_f16_e32 v2, 0xbbad, v45
	v_fma_f16 v1, v18, s25, -v1
	v_add_f16_e32 v47, v47, v55
	v_add_f16_e32 v24, v1, v6
	v_fma_f16 v1, v46, s24, v2
	v_add_f16_e32 v44, v20, v47
	v_add_f16_e32 v20, v1, v7
	v_mul_f16_e32 v1, 0x3853, v4
	v_fma_f16 v3, v46, s26, v2
	v_fma_f16 v2, v18, s18, v1
	v_add_f16_e32 v6, v2, v21
	v_mul_f16_e32 v2, 0x3abb, v45
	v_add_f16_e32 v26, v3, v26
	v_fma_f16 v3, v46, s17, v2
	v_fma_f16 v1, v18, s18, -v1
	v_add_f16_e32 v7, v3, v28
	v_add_f16_e32 v3, v1, v22
	v_fma_f16 v1, v46, s19, v2
	v_add_f16_e32 v19, v1, v27
	v_mul_f16_e32 v1, 0xba0c, v4
	v_fma_f16 v2, v18, s22, v1
	v_mul_f16_e32 v21, 0xb93d, v45
	v_add_f16_e32 v27, v2, v29
	v_fma_f16 v2, v46, s23, v21
	v_fma_f16 v1, v18, s22, -v1
	v_add_f16_e32 v28, v2, v34
	v_add_f16_e32 v2, v1, v33
	v_fma_f16 v1, v46, s21, v21
	v_add_f16_e32 v23, v1, v32
	v_mul_f16_e32 v1, 0x3b47, v4
	v_fma_f16 v21, v18, s14, v1
	v_add_f16_e32 v29, v21, v35
	v_mul_f16_e32 v21, 0x36a6, v45
	v_fma_f16 v22, v46, s5, v21
	v_fma_f16 v21, v46, s15, v21
	v_mul_f16_e32 v4, 0xbbeb, v4
	v_add_f16_e32 v32, v22, v42
	v_add_f16_e32 v22, v21, v39
	v_fma_f16 v21, v18, s16, v4
	v_add_f16_e32 v33, v21, v43
	v_mul_f16_e32 v21, 0xb08e, v45
	v_fma_f16 v4, v18, s16, -v4
	v_add_f16_e32 v0, v4, v0
	v_fma_f16 v4, v46, s4, v21
	v_fma_f16 v34, v46, s20, v21
	v_add_f16_e32 v21, v4, v17
	v_pack_b32_f16 v4, v30, v31
	v_pack_b32_f16 v5, v5, v26
	v_fma_f16 v1, v18, s14, -v1
	v_add_f16_e32 v34, v34, v44
	s_barrier
	ds_write2_b32 v49, v4, v5 offset1:17
	v_pack_b32_f16 v4, v6, v7
	v_pack_b32_f16 v5, v27, v28
	v_add_f16_e32 v1, v1, v40
	ds_write2_b32 v49, v4, v5 offset0:34 offset1:51
	v_pack_b32_f16 v4, v29, v32
	v_pack_b32_f16 v5, v33, v34
	ds_write2_b32 v49, v4, v5 offset0:68 offset1:85
	v_pack_b32_f16 v4, v0, v21
	v_pack_b32_f16 v5, v1, v22
	;; [unrolled: 3-line block ×3, first 2 shown]
	ds_write2_b32 v49, v4, v5 offset0:136 offset1:153
	v_pack_b32_f16 v4, v24, v20
	v_add_u32_e32 v6, 0x500, v41
	ds_write_b32 v49, v4 offset:680
	s_waitcnt lgkmcnt(0)
	s_barrier
	ds_read2_b32 v[17:18], v6 offset0:54 offset1:241
	v_add_u32_e32 v6, 0xb00, v41
	ds_read2_b32 v[4:5], v41 offset1:187
	ds_read2_b32 v[6:7], v6 offset0:44 offset1:231
	s_and_saveexec_b64 s[4:5], s[2:3]
	s_cbranch_execz .LBB0_19
; %bb.18:
	v_add_u32_e32 v0, 0x100, v41
	v_add_u32_e32 v2, 0x700, v41
	;; [unrolled: 1-line block ×3, first 2 shown]
	ds_read2_b32 v[0:1], v0 offset0:38 offset1:225
	ds_read2_b32 v[2:3], v2 offset0:28 offset1:215
	;; [unrolled: 1-line block ×3, first 2 shown]
	s_waitcnt lgkmcnt(2)
	v_lshrrev_b32_e32 v21, 16, v0
	v_lshrrev_b32_e32 v22, 16, v1
	s_waitcnt lgkmcnt(1)
	v_lshrrev_b32_e32 v23, 16, v2
	v_lshrrev_b32_e32 v19, 16, v3
	;; [unrolled: 3-line block ×3, first 2 shown]
.LBB0_19:
	s_or_b64 exec, exec, s[4:5]
	s_waitcnt lgkmcnt(1)
	v_lshrrev_b32_e32 v27, 16, v5
	v_mul_f16_sdwa v32, v12, v27 dst_sel:DWORD dst_unused:UNUSED_PAD src0_sel:WORD_1 src1_sel:DWORD
	v_lshrrev_b32_e32 v28, 16, v17
	v_fma_f16 v32, v12, v5, v32
	v_mul_f16_sdwa v5, v12, v5 dst_sel:DWORD dst_unused:UNUSED_PAD src0_sel:WORD_1 src1_sel:DWORD
	v_fma_f16 v5, v12, v27, -v5
	v_mul_f16_sdwa v12, v13, v28 dst_sel:DWORD dst_unused:UNUSED_PAD src0_sel:WORD_1 src1_sel:DWORD
	v_lshrrev_b32_e32 v29, 16, v18
	v_fma_f16 v12, v13, v17, v12
	v_mul_f16_sdwa v17, v13, v17 dst_sel:DWORD dst_unused:UNUSED_PAD src0_sel:WORD_1 src1_sel:DWORD
	v_fma_f16 v13, v13, v28, -v17
	v_mul_f16_sdwa v17, v14, v29 dst_sel:DWORD dst_unused:UNUSED_PAD src0_sel:WORD_1 src1_sel:DWORD
	s_waitcnt lgkmcnt(0)
	v_lshrrev_b32_e32 v30, 16, v6
	v_fma_f16 v17, v14, v18, v17
	v_mul_f16_sdwa v18, v14, v18 dst_sel:DWORD dst_unused:UNUSED_PAD src0_sel:WORD_1 src1_sel:DWORD
	v_fma_f16 v14, v14, v29, -v18
	v_mul_f16_sdwa v18, v15, v30 dst_sel:DWORD dst_unused:UNUSED_PAD src0_sel:WORD_1 src1_sel:DWORD
	v_fma_f16 v18, v15, v6, v18
	v_mul_f16_sdwa v6, v15, v6 dst_sel:DWORD dst_unused:UNUSED_PAD src0_sel:WORD_1 src1_sel:DWORD
	v_lshrrev_b32_e32 v31, 16, v7
	v_fma_f16 v6, v15, v30, -v6
	v_add_f16_e32 v28, v12, v18
	v_lshrrev_b32_e32 v26, 16, v4
	v_mul_f16_sdwa v15, v50, v31 dst_sel:DWORD dst_unused:UNUSED_PAD src0_sel:WORD_1 src1_sel:DWORD
	v_add_f16_e32 v27, v4, v12
	v_fma_f16 v4, v28, -0.5, v4
	v_sub_f16_e32 v28, v13, v6
	s_mov_b32 s14, 0xbaee
	s_movk_i32 s15, 0x3aee
	v_fma_f16 v15, v50, v7, v15
	v_mul_f16_sdwa v7, v50, v7 dst_sel:DWORD dst_unused:UNUSED_PAD src0_sel:WORD_1 src1_sel:DWORD
	v_fma_f16 v29, v28, s14, v4
	v_fma_f16 v4, v28, s15, v4
	v_add_f16_e32 v28, v26, v13
	v_fma_f16 v7, v50, v31, -v7
	v_add_f16_e32 v27, v27, v18
	v_add_f16_e32 v28, v28, v6
	v_add_f16_e32 v6, v13, v6
	v_sub_f16_e32 v12, v12, v18
	v_add_f16_e32 v18, v17, v15
	v_fma_f16 v6, v6, -0.5, v26
	v_fma_f16 v18, v18, -0.5, v32
	v_sub_f16_e32 v26, v14, v7
	v_fma_f16 v30, v26, s14, v18
	v_fma_f16 v18, v26, s15, v18
	v_add_f16_e32 v26, v5, v14
	v_add_f16_e32 v26, v26, v7
	;; [unrolled: 1-line block ×3, first 2 shown]
	v_fma_f16 v5, v7, -0.5, v5
	v_sub_f16_e32 v7, v17, v15
	v_fma_f16 v13, v12, s15, v6
	v_fma_f16 v6, v12, s14, v6
	v_add_f16_e32 v12, v32, v17
	v_fma_f16 v14, v7, s15, v5
	v_add_f16_e32 v12, v12, v15
	v_fma_f16 v5, v7, s14, v5
	v_mul_f16_e32 v15, 0xbaee, v14
	v_mul_f16_e32 v14, 0.5, v14
	v_fma_f16 v15, v30, 0.5, v15
	v_mul_f16_e32 v31, 0xbaee, v5
	v_fma_f16 v14, v30, s15, v14
	v_mul_f16_e32 v5, -0.5, v5
	v_add_f16_e32 v7, v27, v12
	v_add_f16_e32 v17, v29, v15
	v_fma_f16 v31, v18, -0.5, v31
	v_add_f16_e32 v33, v28, v26
	v_add_f16_e32 v30, v13, v14
	v_fma_f16 v5, v18, s15, v5
	v_add_f16_e32 v32, v4, v31
	v_add_f16_e32 v18, v6, v5
	v_sub_f16_e32 v12, v27, v12
	v_sub_f16_e32 v26, v28, v26
	v_sub_f16_e32 v5, v6, v5
	v_pack_b32_f16 v6, v7, v33
	v_pack_b32_f16 v7, v17, v30
	v_sub_f16_e32 v15, v29, v15
	v_sub_f16_e32 v4, v4, v31
	;; [unrolled: 1-line block ×3, first 2 shown]
	ds_write2_b32 v38, v6, v7 offset1:187
	v_pack_b32_f16 v6, v32, v18
	v_pack_b32_f16 v7, v12, v26
	v_add_u32_e32 v12, 0x500, v38
	ds_write2_b32 v12, v6, v7 offset0:54 offset1:241
	v_pack_b32_f16 v6, v15, v13
	v_pack_b32_f16 v4, v4, v5
	v_add_u32_e32 v5, 0xb00, v38
	ds_write2_b32 v5, v6, v4 offset0:44 offset1:231
	s_and_saveexec_b64 s[4:5], s[2:3]
	s_cbranch_execz .LBB0_21
; %bb.20:
	v_mul_f16_sdwa v13, v10, v19 dst_sel:DWORD dst_unused:UNUSED_PAD src0_sel:WORD_1 src1_sel:DWORD
	v_fma_f16 v13, v10, v3, v13
	v_mul_f16_sdwa v3, v10, v3 dst_sel:DWORD dst_unused:UNUSED_PAD src0_sel:WORD_1 src1_sel:DWORD
	v_mul_f16_sdwa v12, v8, v22 dst_sel:DWORD dst_unused:UNUSED_PAD src0_sel:WORD_1 src1_sel:DWORD
	v_fma_f16 v3, v10, v19, -v3
	v_mul_f16_sdwa v10, v48, v25 dst_sel:DWORD dst_unused:UNUSED_PAD src0_sel:WORD_1 src1_sel:DWORD
	v_mul_f16_sdwa v4, v9, v2 dst_sel:DWORD dst_unused:UNUSED_PAD src0_sel:WORD_1 src1_sel:DWORD
	;; [unrolled: 1-line block ×4, first 2 shown]
	v_fma_f16 v12, v8, v1, v12
	v_mul_f16_sdwa v14, v48, v52 dst_sel:DWORD dst_unused:UNUSED_PAD src0_sel:WORD_1 src1_sel:DWORD
	v_fma_f16 v10, v48, v52, -v10
	v_mul_f16_sdwa v1, v8, v1 dst_sel:DWORD dst_unused:UNUSED_PAD src0_sel:WORD_1 src1_sel:DWORD
	v_fma_f16 v4, v9, v23, -v4
	v_fma_f16 v5, v11, v20, -v5
	v_fma_f16 v2, v9, v2, v7
	v_mul_f16_sdwa v7, v11, v20 dst_sel:DWORD dst_unused:UNUSED_PAD src0_sel:WORD_1 src1_sel:DWORD
	v_fma_f16 v14, v48, v25, v14
	v_fma_f16 v1, v8, v22, -v1
	v_add_f16_e32 v8, v3, v10
	v_add_f16_e32 v6, v5, v4
	v_fma_f16 v7, v11, v24, v7
	v_add_f16_e32 v15, v13, v14
	v_fma_f16 v8, v8, -0.5, v1
	v_sub_f16_e32 v19, v13, v14
	v_add_f16_e32 v1, v3, v1
	v_fma_f16 v6, v6, -0.5, v21
	v_sub_f16_e32 v9, v2, v7
	v_fma_f16 v15, v15, -0.5, v12
	v_sub_f16_e32 v17, v3, v10
	v_fma_f16 v20, v19, s14, v8
	v_fma_f16 v8, v19, s15, v8
	v_add_f16_e32 v1, v10, v1
	v_add_f16_e32 v10, v7, v2
	v_fma_f16 v11, v9, s14, v6
	v_fma_f16 v18, v17, s15, v15
	;; [unrolled: 1-line block ×4, first 2 shown]
	v_mul_f16_e32 v15, 0.5, v8
	v_add_f16_e32 v19, v4, v21
	v_fma_f16 v10, v10, -0.5, v0
	v_sub_f16_e32 v4, v4, v5
	v_mul_f16_e32 v8, 0xbaee, v8
	v_add_f16_e32 v0, v2, v0
	v_add_f16_e32 v2, v13, v12
	v_mul_f16_e32 v22, -0.5, v20
	v_fma_f16 v15, v9, s15, v15
	v_add_f16_e32 v19, v5, v19
	v_fma_f16 v5, v4, s15, v10
	v_mul_f16_e32 v20, 0xbaee, v20
	v_fma_f16 v4, v4, s14, v10
	v_fma_f16 v8, v9, 0.5, v8
	v_add_f16_e32 v0, v7, v0
	v_add_f16_e32 v2, v14, v2
	v_fma_f16 v22, v18, s15, v22
	v_sub_f16_e32 v17, v6, v15
	v_sub_f16_e32 v3, v19, v1
	v_fma_f16 v18, v18, -0.5, v20
	v_sub_f16_e32 v9, v4, v8
	v_sub_f16_e32 v7, v0, v2
	v_add_f16_e32 v6, v6, v15
	v_add_f16_e32 v1, v19, v1
	;; [unrolled: 1-line block ×4, first 2 shown]
	v_sub_f16_e32 v20, v5, v18
	v_add_f16_e32 v10, v11, v22
	v_add_f16_e32 v5, v5, v18
	v_pack_b32_f16 v0, v0, v1
	v_pack_b32_f16 v1, v4, v6
	v_add_u32_e32 v2, 0x100, v38
	v_sub_f16_e32 v23, v11, v22
	ds_write2_b32 v2, v0, v1 offset0:38 offset1:225
	v_pack_b32_f16 v0, v5, v10
	v_pack_b32_f16 v1, v7, v3
	v_add_u32_e32 v2, 0x700, v38
	ds_write2_b32 v2, v0, v1 offset0:28 offset1:215
	v_pack_b32_f16 v0, v9, v17
	v_pack_b32_f16 v1, v20, v23
	v_add_u32_e32 v2, 0xd00, v38
	ds_write2_b32 v2, v0, v1 offset0:18 offset1:205
.LBB0_21:
	s_or_b64 exec, exec, s[4:5]
	s_waitcnt lgkmcnt(0)
	s_barrier
	s_and_b64 exec, exec, s[0:1]
	s_cbranch_execz .LBB0_23
; %bb.22:
	global_load_dword v8, v36, s[6:7]
	v_mad_u64_u32 v[1:2], s[0:1], s10, v16, 0
	v_mad_u64_u32 v[3:4], s[0:1], s8, v37, 0
	ds_read_b32 v9, v38
	s_mov_b32 s14, 0x4bc01d34
	v_mad_u64_u32 v[5:6], s[0:1], s11, v16, v[2:3]
	s_mov_b32 s15, 0x3f4d347a
	v_mov_b32_e32 v10, s13
	v_mad_u64_u32 v[6:7], s[0:1], s9, v37, v[4:5]
	s_waitcnt lgkmcnt(0)
	v_lshrrev_b32_e32 v7, 16, v9
	v_mov_b32_e32 v2, v5
	v_mov_b32_e32 v4, v6
	v_lshlrev_b64 v[1:2], 2, v[1:2]
	v_lshlrev_b64 v[3:4], 2, v[3:4]
	s_movk_i32 s16, 0x1ff
	s_movk_i32 s10, 0xffe
	v_mov_b32_e32 v0, 0x7c00
	s_movk_i32 s18, 0x40f
	s_mov_b32 s17, 0x8000
	s_waitcnt vmcnt(0)
	v_mul_f16_sdwa v5, v7, v8 dst_sel:DWORD dst_unused:UNUSED_PAD src0_sel:DWORD src1_sel:WORD_1
	v_fma_f16 v5, v9, v8, v5
	v_mul_f16_sdwa v6, v9, v8 dst_sel:DWORD dst_unused:UNUSED_PAD src0_sel:DWORD src1_sel:WORD_1
	v_cvt_f32_f16_e32 v5, v5
	v_fma_f16 v6, v8, v7, -v6
	v_cvt_f32_f16_e32 v7, v6
	v_add_co_u32_e32 v9, vcc, s12, v1
	v_cvt_f64_f32_e32 v[5:6], v5
	v_cvt_f64_f32_e32 v[7:8], v7
	v_addc_co_u32_e32 v10, vcc, v10, v2, vcc
	v_mul_f64 v[5:6], v[5:6], s[14:15]
	v_mul_f64 v[1:2], v[7:8], s[14:15]
	v_add_co_u32_e32 v3, vcc, v9, v3
	v_addc_co_u32_e32 v4, vcc, v10, v4, vcc
	v_and_or_b32 v5, v6, s16, v5
	v_and_or_b32 v1, v2, s16, v1
	v_cmp_ne_u32_e32 vcc, 0, v5
	v_lshrrev_b32_e32 v7, 8, v6
	v_bfe_u32 v8, v6, 20, 11
	v_cndmask_b32_e64 v5, 0, 1, vcc
	v_cmp_ne_u32_e32 vcc, 0, v1
	v_lshrrev_b32_e32 v9, 8, v2
	v_bfe_u32 v10, v2, 20, 11
	v_sub_u32_e32 v11, 0x3f1, v8
	v_cndmask_b32_e64 v1, 0, 1, vcc
	v_and_or_b32 v5, v7, s10, v5
	v_sub_u32_e32 v12, 0x3f1, v10
	v_med3_i32 v7, v11, 0, 13
	v_and_or_b32 v1, v9, s10, v1
	v_or_b32_e32 v11, 0x1000, v5
	v_add_u32_e32 v8, 0xfffffc10, v8
	v_med3_i32 v9, v12, 0, 13
	v_cmp_ne_u32_e32 vcc, 0, v5
	v_or_b32_e32 v13, 0x1000, v1
	v_lshrrev_b32_e32 v15, v7, v11
	v_add_u32_e32 v10, 0xfffffc10, v10
	v_lshl_or_b32 v12, v8, 12, v5
	v_cndmask_b32_e64 v5, 0, 1, vcc
	v_cmp_ne_u32_e32 vcc, 0, v1
	v_lshrrev_b32_e32 v16, v9, v13
	v_lshlrev_b32_e32 v7, v7, v15
	v_lshl_or_b32 v14, v10, 12, v1
	v_cndmask_b32_e64 v1, 0, 1, vcc
	v_lshlrev_b32_e32 v9, v9, v16
	v_cmp_ne_u32_e32 vcc, v7, v11
	v_cndmask_b32_e64 v7, 0, 1, vcc
	v_cmp_ne_u32_e32 vcc, v9, v13
	v_cndmask_b32_e64 v9, 0, 1, vcc
	v_or_b32_e32 v7, v15, v7
	v_cmp_gt_i32_e32 vcc, 1, v8
	v_cndmask_b32_e32 v7, v12, v7, vcc
	v_or_b32_e32 v9, v16, v9
	v_cmp_gt_i32_e32 vcc, 1, v10
	v_and_b32_e32 v11, 7, v7
	v_cndmask_b32_e32 v9, v14, v9, vcc
	v_cmp_lt_i32_e32 vcc, 5, v11
	v_cmp_eq_u32_e64 s[0:1], 3, v11
	v_lshrrev_b32_e32 v7, 2, v7
	v_and_b32_e32 v12, 7, v9
	s_or_b64 vcc, s[0:1], vcc
	v_cmp_lt_i32_e64 s[2:3], 5, v12
	v_cmp_eq_u32_e64 s[4:5], 3, v12
	v_addc_co_u32_e32 v7, vcc, 0, v7, vcc
	v_lshrrev_b32_e32 v9, 2, v9
	s_or_b64 vcc, s[4:5], s[2:3]
	v_addc_co_u32_e32 v9, vcc, 0, v9, vcc
	v_cmp_gt_i32_e32 vcc, 31, v8
	v_cndmask_b32_e32 v7, v0, v7, vcc
	v_cmp_gt_i32_e32 vcc, 31, v10
	v_lshl_or_b32 v5, v5, 9, v0
	v_cndmask_b32_e32 v9, v0, v9, vcc
	v_cmp_eq_u32_e32 vcc, s18, v8
	v_lshrrev_b32_e32 v6, 16, v6
	v_lshl_or_b32 v1, v1, 9, v0
	v_cndmask_b32_e32 v5, v7, v5, vcc
	v_cmp_eq_u32_e32 vcc, s18, v10
	v_lshrrev_b32_e32 v2, 16, v2
	v_cndmask_b32_e32 v1, v9, v1, vcc
	v_and_or_b32 v5, v6, s17, v5
	v_and_or_b32 v1, v2, s17, v1
	v_and_b32_e32 v2, 0xffff, v5
	v_lshl_or_b32 v1, v1, 16, v2
	global_store_dword v[3:4], v1, off
	global_load_dword v5, v36, s[6:7] offset:264
	ds_read2_b32 v[1:2], v38 offset0:66 offset1:132
	s_mul_i32 s0, s9, 0x108
	s_mul_hi_u32 s9, s8, 0x108
	s_mulk_i32 s8, 0x108
	s_add_i32 s9, s9, s0
	s_waitcnt lgkmcnt(0)
	v_lshrrev_b32_e32 v6, 16, v1
	v_add_co_u32_e32 v3, vcc, s8, v3
	s_waitcnt vmcnt(0)
	v_mul_f16_sdwa v7, v6, v5 dst_sel:DWORD dst_unused:UNUSED_PAD src0_sel:DWORD src1_sel:WORD_1
	v_fma_f16 v7, v1, v5, v7
	v_mul_f16_sdwa v1, v1, v5 dst_sel:DWORD dst_unused:UNUSED_PAD src0_sel:DWORD src1_sel:WORD_1
	v_cvt_f32_f16_e32 v7, v7
	v_fma_f16 v1, v5, v6, -v1
	v_cvt_f32_f16_e32 v1, v1
	v_cvt_f64_f32_e32 v[5:6], v7
	v_cvt_f64_f32_e32 v[7:8], v1
	v_mov_b32_e32 v1, s9
	v_mul_f64 v[5:6], v[5:6], s[14:15]
	v_addc_co_u32_e32 v4, vcc, v4, v1, vcc
	v_mul_f64 v[7:8], v[7:8], s[14:15]
	v_and_or_b32 v1, v6, s16, v5
	v_cmp_ne_u32_e32 vcc, 0, v1
	v_lshrrev_b32_e32 v5, 8, v6
	v_and_or_b32 v7, v8, s16, v7
	v_bfe_u32 v9, v6, 20, 11
	v_cndmask_b32_e64 v1, 0, 1, vcc
	v_cmp_ne_u32_e32 vcc, 0, v7
	v_lshrrev_b32_e32 v10, 8, v8
	v_bfe_u32 v11, v8, 20, 11
	v_sub_u32_e32 v12, 0x3f1, v9
	v_cndmask_b32_e64 v7, 0, 1, vcc
	v_and_or_b32 v1, v5, s10, v1
	v_sub_u32_e32 v13, 0x3f1, v11
	v_med3_i32 v5, v12, 0, 13
	v_and_or_b32 v7, v10, s10, v7
	v_or_b32_e32 v12, 0x1000, v1
	v_add_u32_e32 v9, 0xfffffc10, v9
	v_med3_i32 v10, v13, 0, 13
	v_cmp_ne_u32_e32 vcc, 0, v1
	v_or_b32_e32 v14, 0x1000, v7
	v_lshrrev_b32_e32 v16, v5, v12
	v_add_u32_e32 v11, 0xfffffc10, v11
	v_lshl_or_b32 v13, v9, 12, v1
	v_cndmask_b32_e64 v1, 0, 1, vcc
	v_cmp_ne_u32_e32 vcc, 0, v7
	v_lshrrev_b32_e32 v17, v10, v14
	v_lshlrev_b32_e32 v5, v5, v16
	v_lshl_or_b32 v15, v11, 12, v7
	v_cndmask_b32_e64 v7, 0, 1, vcc
	v_lshlrev_b32_e32 v10, v10, v17
	v_cmp_ne_u32_e32 vcc, v5, v12
	v_cndmask_b32_e64 v5, 0, 1, vcc
	v_cmp_ne_u32_e32 vcc, v10, v14
	v_cndmask_b32_e64 v10, 0, 1, vcc
	v_or_b32_e32 v5, v16, v5
	v_cmp_gt_i32_e32 vcc, 1, v9
	v_cndmask_b32_e32 v5, v13, v5, vcc
	v_or_b32_e32 v10, v17, v10
	v_cmp_gt_i32_e32 vcc, 1, v11
	v_and_b32_e32 v12, 7, v5
	v_cndmask_b32_e32 v10, v15, v10, vcc
	v_cmp_lt_i32_e32 vcc, 5, v12
	v_cmp_eq_u32_e64 s[0:1], 3, v12
	v_lshrrev_b32_e32 v5, 2, v5
	v_and_b32_e32 v13, 7, v10
	s_or_b64 vcc, s[0:1], vcc
	v_cmp_lt_i32_e64 s[2:3], 5, v13
	v_cmp_eq_u32_e64 s[4:5], 3, v13
	v_addc_co_u32_e32 v5, vcc, 0, v5, vcc
	v_lshrrev_b32_e32 v10, 2, v10
	s_or_b64 vcc, s[4:5], s[2:3]
	v_addc_co_u32_e32 v10, vcc, 0, v10, vcc
	v_cmp_gt_i32_e32 vcc, 31, v9
	v_cndmask_b32_e32 v5, v0, v5, vcc
	v_cmp_gt_i32_e32 vcc, 31, v11
	v_lshl_or_b32 v1, v1, 9, v0
	v_cndmask_b32_e32 v10, v0, v10, vcc
	v_cmp_eq_u32_e32 vcc, s18, v9
	v_lshrrev_b32_e32 v6, 16, v6
	v_lshl_or_b32 v7, v7, 9, v0
	v_cndmask_b32_e32 v1, v5, v1, vcc
	v_cmp_eq_u32_e32 vcc, s18, v11
	v_lshrrev_b32_e32 v8, 16, v8
	v_cndmask_b32_e32 v5, v10, v7, vcc
	v_and_or_b32 v1, v6, s17, v1
	v_and_or_b32 v5, v8, s17, v5
	v_and_b32_e32 v1, 0xffff, v1
	v_lshl_or_b32 v1, v5, 16, v1
	global_store_dword v[3:4], v1, off
	global_load_dword v1, v36, s[6:7] offset:528
	v_lshrrev_b32_e32 v5, 16, v2
	v_mov_b32_e32 v7, s9
	v_add_co_u32_e32 v3, vcc, s8, v3
	v_addc_co_u32_e32 v4, vcc, v4, v7, vcc
	s_waitcnt vmcnt(0)
	v_mul_f16_sdwa v6, v5, v1 dst_sel:DWORD dst_unused:UNUSED_PAD src0_sel:DWORD src1_sel:WORD_1
	v_fma_f16 v6, v2, v1, v6
	v_mul_f16_sdwa v2, v2, v1 dst_sel:DWORD dst_unused:UNUSED_PAD src0_sel:DWORD src1_sel:WORD_1
	v_cvt_f32_f16_e32 v6, v6
	v_fma_f16 v1, v1, v5, -v2
	v_cvt_f32_f16_e32 v5, v1
	v_cvt_f64_f32_e32 v[1:2], v6
	v_cvt_f64_f32_e32 v[5:6], v5
	v_mul_f64 v[1:2], v[1:2], s[14:15]
	v_mul_f64 v[5:6], v[5:6], s[14:15]
	v_and_or_b32 v1, v2, s16, v1
	v_cmp_ne_u32_e32 vcc, 0, v1
	v_and_or_b32 v5, v6, s16, v5
	v_lshrrev_b32_e32 v7, 8, v2
	v_bfe_u32 v8, v2, 20, 11
	v_cndmask_b32_e64 v1, 0, 1, vcc
	v_cmp_ne_u32_e32 vcc, 0, v5
	v_lshrrev_b32_e32 v9, 8, v6
	v_bfe_u32 v10, v6, 20, 11
	v_sub_u32_e32 v11, 0x3f1, v8
	v_cndmask_b32_e64 v5, 0, 1, vcc
	v_and_or_b32 v1, v7, s10, v1
	v_sub_u32_e32 v12, 0x3f1, v10
	v_med3_i32 v7, v11, 0, 13
	v_and_or_b32 v5, v9, s10, v5
	v_or_b32_e32 v11, 0x1000, v1
	v_add_u32_e32 v8, 0xfffffc10, v8
	v_med3_i32 v9, v12, 0, 13
	v_cmp_ne_u32_e32 vcc, 0, v1
	v_or_b32_e32 v13, 0x1000, v5
	v_lshrrev_b32_e32 v15, v7, v11
	v_add_u32_e32 v10, 0xfffffc10, v10
	v_lshl_or_b32 v12, v8, 12, v1
	v_cndmask_b32_e64 v1, 0, 1, vcc
	v_cmp_ne_u32_e32 vcc, 0, v5
	v_lshrrev_b32_e32 v16, v9, v13
	v_lshlrev_b32_e32 v7, v7, v15
	v_lshl_or_b32 v14, v10, 12, v5
	v_cndmask_b32_e64 v5, 0, 1, vcc
	v_lshlrev_b32_e32 v9, v9, v16
	v_cmp_ne_u32_e32 vcc, v7, v11
	v_cndmask_b32_e64 v7, 0, 1, vcc
	v_cmp_ne_u32_e32 vcc, v9, v13
	v_cndmask_b32_e64 v9, 0, 1, vcc
	v_or_b32_e32 v7, v15, v7
	v_cmp_gt_i32_e32 vcc, 1, v8
	v_cndmask_b32_e32 v7, v12, v7, vcc
	v_or_b32_e32 v9, v16, v9
	v_cmp_gt_i32_e32 vcc, 1, v10
	v_and_b32_e32 v11, 7, v7
	v_cndmask_b32_e32 v9, v14, v9, vcc
	v_cmp_lt_i32_e32 vcc, 5, v11
	v_cmp_eq_u32_e64 s[0:1], 3, v11
	v_lshrrev_b32_e32 v7, 2, v7
	v_and_b32_e32 v12, 7, v9
	s_or_b64 vcc, s[0:1], vcc
	v_cmp_lt_i32_e64 s[2:3], 5, v12
	v_cmp_eq_u32_e64 s[4:5], 3, v12
	v_addc_co_u32_e32 v7, vcc, 0, v7, vcc
	v_lshrrev_b32_e32 v9, 2, v9
	s_or_b64 vcc, s[4:5], s[2:3]
	v_addc_co_u32_e32 v9, vcc, 0, v9, vcc
	v_cmp_gt_i32_e32 vcc, 31, v8
	v_cndmask_b32_e32 v7, v0, v7, vcc
	v_cmp_gt_i32_e32 vcc, 31, v10
	v_lshl_or_b32 v1, v1, 9, v0
	v_cndmask_b32_e32 v9, v0, v9, vcc
	v_cmp_eq_u32_e32 vcc, s18, v8
	v_lshrrev_b32_e32 v2, 16, v2
	v_lshl_or_b32 v5, v5, 9, v0
	v_cndmask_b32_e32 v1, v7, v1, vcc
	v_cmp_eq_u32_e32 vcc, s18, v10
	v_lshrrev_b32_e32 v6, 16, v6
	v_cndmask_b32_e32 v5, v9, v5, vcc
	v_and_or_b32 v1, v2, s17, v1
	v_and_or_b32 v2, v6, s17, v5
	v_and_b32_e32 v1, 0xffff, v1
	v_lshl_or_b32 v1, v2, 16, v1
	global_store_dword v[3:4], v1, off
	global_load_dword v5, v36, s[6:7] offset:792
	v_add_u32_e32 v1, 0x200, v38
	ds_read2_b32 v[1:2], v1 offset0:70 offset1:136
	v_add_co_u32_e32 v3, vcc, s8, v3
	s_waitcnt lgkmcnt(0)
	v_lshrrev_b32_e32 v6, 16, v1
	s_waitcnt vmcnt(0)
	v_mul_f16_sdwa v7, v6, v5 dst_sel:DWORD dst_unused:UNUSED_PAD src0_sel:DWORD src1_sel:WORD_1
	v_fma_f16 v7, v1, v5, v7
	v_mul_f16_sdwa v1, v1, v5 dst_sel:DWORD dst_unused:UNUSED_PAD src0_sel:DWORD src1_sel:WORD_1
	v_cvt_f32_f16_e32 v7, v7
	v_fma_f16 v1, v5, v6, -v1
	v_cvt_f32_f16_e32 v1, v1
	v_cvt_f64_f32_e32 v[5:6], v7
	v_cvt_f64_f32_e32 v[7:8], v1
	v_mov_b32_e32 v1, s9
	v_mul_f64 v[5:6], v[5:6], s[14:15]
	v_addc_co_u32_e32 v4, vcc, v4, v1, vcc
	v_mul_f64 v[7:8], v[7:8], s[14:15]
	v_and_or_b32 v1, v6, s16, v5
	v_cmp_ne_u32_e32 vcc, 0, v1
	v_lshrrev_b32_e32 v5, 8, v6
	v_and_or_b32 v7, v8, s16, v7
	v_bfe_u32 v9, v6, 20, 11
	v_cndmask_b32_e64 v1, 0, 1, vcc
	v_cmp_ne_u32_e32 vcc, 0, v7
	v_lshrrev_b32_e32 v10, 8, v8
	v_bfe_u32 v11, v8, 20, 11
	v_sub_u32_e32 v12, 0x3f1, v9
	v_cndmask_b32_e64 v7, 0, 1, vcc
	v_and_or_b32 v1, v5, s10, v1
	v_sub_u32_e32 v13, 0x3f1, v11
	v_med3_i32 v5, v12, 0, 13
	v_and_or_b32 v7, v10, s10, v7
	v_or_b32_e32 v12, 0x1000, v1
	v_add_u32_e32 v9, 0xfffffc10, v9
	v_med3_i32 v10, v13, 0, 13
	v_cmp_ne_u32_e32 vcc, 0, v1
	v_or_b32_e32 v14, 0x1000, v7
	v_lshrrev_b32_e32 v16, v5, v12
	v_add_u32_e32 v11, 0xfffffc10, v11
	v_lshl_or_b32 v13, v9, 12, v1
	v_cndmask_b32_e64 v1, 0, 1, vcc
	v_cmp_ne_u32_e32 vcc, 0, v7
	v_lshrrev_b32_e32 v17, v10, v14
	v_lshlrev_b32_e32 v5, v5, v16
	v_lshl_or_b32 v15, v11, 12, v7
	v_cndmask_b32_e64 v7, 0, 1, vcc
	v_lshlrev_b32_e32 v10, v10, v17
	v_cmp_ne_u32_e32 vcc, v5, v12
	v_cndmask_b32_e64 v5, 0, 1, vcc
	v_cmp_ne_u32_e32 vcc, v10, v14
	v_cndmask_b32_e64 v10, 0, 1, vcc
	v_or_b32_e32 v5, v16, v5
	v_cmp_gt_i32_e32 vcc, 1, v9
	v_cndmask_b32_e32 v5, v13, v5, vcc
	v_or_b32_e32 v10, v17, v10
	v_cmp_gt_i32_e32 vcc, 1, v11
	v_and_b32_e32 v12, 7, v5
	v_cndmask_b32_e32 v10, v15, v10, vcc
	v_cmp_lt_i32_e32 vcc, 5, v12
	v_cmp_eq_u32_e64 s[0:1], 3, v12
	v_lshrrev_b32_e32 v5, 2, v5
	v_and_b32_e32 v13, 7, v10
	s_or_b64 vcc, s[0:1], vcc
	v_cmp_lt_i32_e64 s[2:3], 5, v13
	v_cmp_eq_u32_e64 s[4:5], 3, v13
	v_addc_co_u32_e32 v5, vcc, 0, v5, vcc
	v_lshrrev_b32_e32 v10, 2, v10
	s_or_b64 vcc, s[4:5], s[2:3]
	v_addc_co_u32_e32 v10, vcc, 0, v10, vcc
	v_cmp_gt_i32_e32 vcc, 31, v9
	v_cndmask_b32_e32 v5, v0, v5, vcc
	v_cmp_gt_i32_e32 vcc, 31, v11
	v_lshl_or_b32 v1, v1, 9, v0
	v_cndmask_b32_e32 v10, v0, v10, vcc
	v_cmp_eq_u32_e32 vcc, s18, v9
	v_lshrrev_b32_e32 v6, 16, v6
	v_lshl_or_b32 v7, v7, 9, v0
	v_cndmask_b32_e32 v1, v5, v1, vcc
	v_cmp_eq_u32_e32 vcc, s18, v11
	v_lshrrev_b32_e32 v8, 16, v8
	v_cndmask_b32_e32 v5, v10, v7, vcc
	v_and_or_b32 v1, v6, s17, v1
	v_and_or_b32 v5, v8, s17, v5
	v_and_b32_e32 v1, 0xffff, v1
	v_lshl_or_b32 v1, v5, 16, v1
	global_store_dword v[3:4], v1, off
	global_load_dword v1, v36, s[6:7] offset:1056
	v_lshrrev_b32_e32 v5, 16, v2
	v_mov_b32_e32 v7, s9
	v_add_co_u32_e32 v3, vcc, s8, v3
	v_addc_co_u32_e32 v4, vcc, v4, v7, vcc
	s_waitcnt vmcnt(0)
	v_mul_f16_sdwa v6, v5, v1 dst_sel:DWORD dst_unused:UNUSED_PAD src0_sel:DWORD src1_sel:WORD_1
	v_fma_f16 v6, v2, v1, v6
	v_mul_f16_sdwa v2, v2, v1 dst_sel:DWORD dst_unused:UNUSED_PAD src0_sel:DWORD src1_sel:WORD_1
	v_cvt_f32_f16_e32 v6, v6
	v_fma_f16 v1, v1, v5, -v2
	v_cvt_f32_f16_e32 v5, v1
	v_cvt_f64_f32_e32 v[1:2], v6
	v_cvt_f64_f32_e32 v[5:6], v5
	v_mul_f64 v[1:2], v[1:2], s[14:15]
	v_mul_f64 v[5:6], v[5:6], s[14:15]
	v_and_or_b32 v1, v2, s16, v1
	v_cmp_ne_u32_e32 vcc, 0, v1
	v_and_or_b32 v5, v6, s16, v5
	v_lshrrev_b32_e32 v7, 8, v2
	v_bfe_u32 v8, v2, 20, 11
	v_cndmask_b32_e64 v1, 0, 1, vcc
	v_cmp_ne_u32_e32 vcc, 0, v5
	v_lshrrev_b32_e32 v9, 8, v6
	v_bfe_u32 v10, v6, 20, 11
	v_sub_u32_e32 v11, 0x3f1, v8
	v_cndmask_b32_e64 v5, 0, 1, vcc
	v_and_or_b32 v1, v7, s10, v1
	v_sub_u32_e32 v12, 0x3f1, v10
	v_med3_i32 v7, v11, 0, 13
	v_and_or_b32 v5, v9, s10, v5
	v_or_b32_e32 v11, 0x1000, v1
	v_add_u32_e32 v8, 0xfffffc10, v8
	v_med3_i32 v9, v12, 0, 13
	v_cmp_ne_u32_e32 vcc, 0, v1
	v_or_b32_e32 v13, 0x1000, v5
	v_lshrrev_b32_e32 v15, v7, v11
	v_add_u32_e32 v10, 0xfffffc10, v10
	v_lshl_or_b32 v12, v8, 12, v1
	v_cndmask_b32_e64 v1, 0, 1, vcc
	v_cmp_ne_u32_e32 vcc, 0, v5
	v_lshrrev_b32_e32 v16, v9, v13
	v_lshlrev_b32_e32 v7, v7, v15
	v_lshl_or_b32 v14, v10, 12, v5
	v_cndmask_b32_e64 v5, 0, 1, vcc
	v_lshlrev_b32_e32 v9, v9, v16
	v_cmp_ne_u32_e32 vcc, v7, v11
	v_cndmask_b32_e64 v7, 0, 1, vcc
	v_cmp_ne_u32_e32 vcc, v9, v13
	v_cndmask_b32_e64 v9, 0, 1, vcc
	v_or_b32_e32 v7, v15, v7
	v_cmp_gt_i32_e32 vcc, 1, v8
	v_cndmask_b32_e32 v7, v12, v7, vcc
	v_or_b32_e32 v9, v16, v9
	v_cmp_gt_i32_e32 vcc, 1, v10
	v_and_b32_e32 v11, 7, v7
	v_cndmask_b32_e32 v9, v14, v9, vcc
	v_cmp_lt_i32_e32 vcc, 5, v11
	v_cmp_eq_u32_e64 s[0:1], 3, v11
	v_lshrrev_b32_e32 v7, 2, v7
	v_and_b32_e32 v12, 7, v9
	s_or_b64 vcc, s[0:1], vcc
	v_cmp_lt_i32_e64 s[2:3], 5, v12
	v_cmp_eq_u32_e64 s[4:5], 3, v12
	v_addc_co_u32_e32 v7, vcc, 0, v7, vcc
	v_lshrrev_b32_e32 v9, 2, v9
	s_or_b64 vcc, s[4:5], s[2:3]
	v_addc_co_u32_e32 v9, vcc, 0, v9, vcc
	v_cmp_gt_i32_e32 vcc, 31, v8
	v_cndmask_b32_e32 v7, v0, v7, vcc
	v_cmp_gt_i32_e32 vcc, 31, v10
	v_lshl_or_b32 v1, v1, 9, v0
	v_cndmask_b32_e32 v9, v0, v9, vcc
	v_cmp_eq_u32_e32 vcc, s18, v8
	v_lshrrev_b32_e32 v2, 16, v2
	v_lshl_or_b32 v5, v5, 9, v0
	v_cndmask_b32_e32 v1, v7, v1, vcc
	v_cmp_eq_u32_e32 vcc, s18, v10
	v_lshrrev_b32_e32 v6, 16, v6
	v_cndmask_b32_e32 v5, v9, v5, vcc
	v_and_or_b32 v1, v2, s17, v1
	v_and_or_b32 v2, v6, s17, v5
	v_and_b32_e32 v1, 0xffff, v1
	v_lshl_or_b32 v1, v2, 16, v1
	global_store_dword v[3:4], v1, off
	global_load_dword v5, v36, s[6:7] offset:1320
	v_add_u32_e32 v1, 0x400, v38
	ds_read2_b32 v[1:2], v1 offset0:74 offset1:140
	v_add_co_u32_e32 v3, vcc, s8, v3
	s_waitcnt lgkmcnt(0)
	v_lshrrev_b32_e32 v6, 16, v1
	s_waitcnt vmcnt(0)
	v_mul_f16_sdwa v7, v6, v5 dst_sel:DWORD dst_unused:UNUSED_PAD src0_sel:DWORD src1_sel:WORD_1
	v_fma_f16 v7, v1, v5, v7
	v_mul_f16_sdwa v1, v1, v5 dst_sel:DWORD dst_unused:UNUSED_PAD src0_sel:DWORD src1_sel:WORD_1
	v_cvt_f32_f16_e32 v7, v7
	v_fma_f16 v1, v5, v6, -v1
	v_cvt_f32_f16_e32 v1, v1
	v_cvt_f64_f32_e32 v[5:6], v7
	v_cvt_f64_f32_e32 v[7:8], v1
	v_mov_b32_e32 v1, s9
	v_mul_f64 v[5:6], v[5:6], s[14:15]
	v_addc_co_u32_e32 v4, vcc, v4, v1, vcc
	v_mul_f64 v[7:8], v[7:8], s[14:15]
	v_and_or_b32 v1, v6, s16, v5
	v_cmp_ne_u32_e32 vcc, 0, v1
	v_lshrrev_b32_e32 v5, 8, v6
	v_and_or_b32 v7, v8, s16, v7
	v_bfe_u32 v9, v6, 20, 11
	v_cndmask_b32_e64 v1, 0, 1, vcc
	v_cmp_ne_u32_e32 vcc, 0, v7
	v_lshrrev_b32_e32 v10, 8, v8
	v_bfe_u32 v11, v8, 20, 11
	v_sub_u32_e32 v12, 0x3f1, v9
	v_cndmask_b32_e64 v7, 0, 1, vcc
	v_and_or_b32 v1, v5, s10, v1
	v_sub_u32_e32 v13, 0x3f1, v11
	v_med3_i32 v5, v12, 0, 13
	v_and_or_b32 v7, v10, s10, v7
	v_or_b32_e32 v12, 0x1000, v1
	v_add_u32_e32 v9, 0xfffffc10, v9
	v_med3_i32 v10, v13, 0, 13
	v_cmp_ne_u32_e32 vcc, 0, v1
	v_or_b32_e32 v14, 0x1000, v7
	v_lshrrev_b32_e32 v16, v5, v12
	v_add_u32_e32 v11, 0xfffffc10, v11
	v_lshl_or_b32 v13, v9, 12, v1
	v_cndmask_b32_e64 v1, 0, 1, vcc
	v_cmp_ne_u32_e32 vcc, 0, v7
	v_lshrrev_b32_e32 v17, v10, v14
	v_lshlrev_b32_e32 v5, v5, v16
	v_lshl_or_b32 v15, v11, 12, v7
	v_cndmask_b32_e64 v7, 0, 1, vcc
	v_lshlrev_b32_e32 v10, v10, v17
	v_cmp_ne_u32_e32 vcc, v5, v12
	v_cndmask_b32_e64 v5, 0, 1, vcc
	v_cmp_ne_u32_e32 vcc, v10, v14
	v_cndmask_b32_e64 v10, 0, 1, vcc
	v_or_b32_e32 v5, v16, v5
	v_cmp_gt_i32_e32 vcc, 1, v9
	v_cndmask_b32_e32 v5, v13, v5, vcc
	v_or_b32_e32 v10, v17, v10
	v_cmp_gt_i32_e32 vcc, 1, v11
	v_and_b32_e32 v12, 7, v5
	v_cndmask_b32_e32 v10, v15, v10, vcc
	v_cmp_lt_i32_e32 vcc, 5, v12
	v_cmp_eq_u32_e64 s[0:1], 3, v12
	v_lshrrev_b32_e32 v5, 2, v5
	v_and_b32_e32 v13, 7, v10
	s_or_b64 vcc, s[0:1], vcc
	v_cmp_lt_i32_e64 s[2:3], 5, v13
	v_cmp_eq_u32_e64 s[4:5], 3, v13
	v_addc_co_u32_e32 v5, vcc, 0, v5, vcc
	v_lshrrev_b32_e32 v10, 2, v10
	s_or_b64 vcc, s[4:5], s[2:3]
	v_addc_co_u32_e32 v10, vcc, 0, v10, vcc
	v_cmp_gt_i32_e32 vcc, 31, v9
	v_cndmask_b32_e32 v5, v0, v5, vcc
	v_cmp_gt_i32_e32 vcc, 31, v11
	v_lshl_or_b32 v1, v1, 9, v0
	v_cndmask_b32_e32 v10, v0, v10, vcc
	v_cmp_eq_u32_e32 vcc, s18, v9
	v_lshrrev_b32_e32 v6, 16, v6
	v_lshl_or_b32 v7, v7, 9, v0
	v_cndmask_b32_e32 v1, v5, v1, vcc
	v_cmp_eq_u32_e32 vcc, s18, v11
	v_lshrrev_b32_e32 v8, 16, v8
	v_cndmask_b32_e32 v5, v10, v7, vcc
	v_and_or_b32 v1, v6, s17, v1
	v_and_or_b32 v5, v8, s17, v5
	v_and_b32_e32 v1, 0xffff, v1
	v_lshl_or_b32 v1, v5, 16, v1
	global_store_dword v[3:4], v1, off
	global_load_dword v1, v36, s[6:7] offset:1584
	v_lshrrev_b32_e32 v5, 16, v2
	v_mov_b32_e32 v7, s9
	v_add_co_u32_e32 v3, vcc, s8, v3
	v_addc_co_u32_e32 v4, vcc, v4, v7, vcc
	s_waitcnt vmcnt(0)
	v_mul_f16_sdwa v6, v5, v1 dst_sel:DWORD dst_unused:UNUSED_PAD src0_sel:DWORD src1_sel:WORD_1
	v_fma_f16 v6, v2, v1, v6
	v_mul_f16_sdwa v2, v2, v1 dst_sel:DWORD dst_unused:UNUSED_PAD src0_sel:DWORD src1_sel:WORD_1
	v_cvt_f32_f16_e32 v6, v6
	v_fma_f16 v1, v1, v5, -v2
	v_cvt_f32_f16_e32 v5, v1
	v_cvt_f64_f32_e32 v[1:2], v6
	v_cvt_f64_f32_e32 v[5:6], v5
	v_mul_f64 v[1:2], v[1:2], s[14:15]
	v_mul_f64 v[5:6], v[5:6], s[14:15]
	v_and_or_b32 v1, v2, s16, v1
	v_cmp_ne_u32_e32 vcc, 0, v1
	v_and_or_b32 v5, v6, s16, v5
	v_lshrrev_b32_e32 v7, 8, v2
	v_bfe_u32 v8, v2, 20, 11
	v_cndmask_b32_e64 v1, 0, 1, vcc
	v_cmp_ne_u32_e32 vcc, 0, v5
	v_lshrrev_b32_e32 v9, 8, v6
	v_bfe_u32 v10, v6, 20, 11
	v_sub_u32_e32 v11, 0x3f1, v8
	v_cndmask_b32_e64 v5, 0, 1, vcc
	v_and_or_b32 v1, v7, s10, v1
	v_sub_u32_e32 v12, 0x3f1, v10
	v_med3_i32 v7, v11, 0, 13
	v_and_or_b32 v5, v9, s10, v5
	v_or_b32_e32 v11, 0x1000, v1
	v_add_u32_e32 v8, 0xfffffc10, v8
	v_med3_i32 v9, v12, 0, 13
	v_cmp_ne_u32_e32 vcc, 0, v1
	v_or_b32_e32 v13, 0x1000, v5
	v_lshrrev_b32_e32 v15, v7, v11
	v_add_u32_e32 v10, 0xfffffc10, v10
	v_lshl_or_b32 v12, v8, 12, v1
	v_cndmask_b32_e64 v1, 0, 1, vcc
	v_cmp_ne_u32_e32 vcc, 0, v5
	v_lshrrev_b32_e32 v16, v9, v13
	v_lshlrev_b32_e32 v7, v7, v15
	v_lshl_or_b32 v14, v10, 12, v5
	v_cndmask_b32_e64 v5, 0, 1, vcc
	v_lshlrev_b32_e32 v9, v9, v16
	v_cmp_ne_u32_e32 vcc, v7, v11
	v_cndmask_b32_e64 v7, 0, 1, vcc
	v_cmp_ne_u32_e32 vcc, v9, v13
	v_cndmask_b32_e64 v9, 0, 1, vcc
	v_or_b32_e32 v7, v15, v7
	v_cmp_gt_i32_e32 vcc, 1, v8
	v_cndmask_b32_e32 v7, v12, v7, vcc
	v_or_b32_e32 v9, v16, v9
	v_cmp_gt_i32_e32 vcc, 1, v10
	v_and_b32_e32 v11, 7, v7
	v_cndmask_b32_e32 v9, v14, v9, vcc
	v_cmp_lt_i32_e32 vcc, 5, v11
	v_cmp_eq_u32_e64 s[0:1], 3, v11
	v_lshrrev_b32_e32 v7, 2, v7
	v_and_b32_e32 v12, 7, v9
	s_or_b64 vcc, s[0:1], vcc
	v_cmp_lt_i32_e64 s[2:3], 5, v12
	v_cmp_eq_u32_e64 s[4:5], 3, v12
	v_addc_co_u32_e32 v7, vcc, 0, v7, vcc
	v_lshrrev_b32_e32 v9, 2, v9
	s_or_b64 vcc, s[4:5], s[2:3]
	v_addc_co_u32_e32 v9, vcc, 0, v9, vcc
	v_cmp_gt_i32_e32 vcc, 31, v8
	v_cndmask_b32_e32 v7, v0, v7, vcc
	v_cmp_gt_i32_e32 vcc, 31, v10
	v_lshl_or_b32 v1, v1, 9, v0
	v_cndmask_b32_e32 v9, v0, v9, vcc
	v_cmp_eq_u32_e32 vcc, s18, v8
	v_lshrrev_b32_e32 v2, 16, v2
	v_lshl_or_b32 v5, v5, 9, v0
	v_cndmask_b32_e32 v1, v7, v1, vcc
	v_cmp_eq_u32_e32 vcc, s18, v10
	v_lshrrev_b32_e32 v6, 16, v6
	v_cndmask_b32_e32 v5, v9, v5, vcc
	v_and_or_b32 v1, v2, s17, v1
	v_and_or_b32 v2, v6, s17, v5
	v_and_b32_e32 v1, 0xffff, v1
	v_lshl_or_b32 v1, v2, 16, v1
	global_store_dword v[3:4], v1, off
	global_load_dword v5, v36, s[6:7] offset:1848
	v_add_u32_e32 v1, 0x600, v38
	ds_read2_b32 v[1:2], v1 offset0:78 offset1:144
	v_add_co_u32_e32 v3, vcc, s8, v3
	s_waitcnt lgkmcnt(0)
	v_lshrrev_b32_e32 v6, 16, v1
	s_waitcnt vmcnt(0)
	v_mul_f16_sdwa v7, v6, v5 dst_sel:DWORD dst_unused:UNUSED_PAD src0_sel:DWORD src1_sel:WORD_1
	v_fma_f16 v7, v1, v5, v7
	v_mul_f16_sdwa v1, v1, v5 dst_sel:DWORD dst_unused:UNUSED_PAD src0_sel:DWORD src1_sel:WORD_1
	v_cvt_f32_f16_e32 v7, v7
	v_fma_f16 v1, v5, v6, -v1
	v_cvt_f32_f16_e32 v1, v1
	v_cvt_f64_f32_e32 v[5:6], v7
	v_cvt_f64_f32_e32 v[7:8], v1
	v_mov_b32_e32 v1, s9
	v_mul_f64 v[5:6], v[5:6], s[14:15]
	v_addc_co_u32_e32 v4, vcc, v4, v1, vcc
	v_mul_f64 v[7:8], v[7:8], s[14:15]
	v_and_or_b32 v1, v6, s16, v5
	v_cmp_ne_u32_e32 vcc, 0, v1
	v_lshrrev_b32_e32 v5, 8, v6
	v_and_or_b32 v7, v8, s16, v7
	v_bfe_u32 v9, v6, 20, 11
	v_cndmask_b32_e64 v1, 0, 1, vcc
	v_cmp_ne_u32_e32 vcc, 0, v7
	v_lshrrev_b32_e32 v10, 8, v8
	v_bfe_u32 v11, v8, 20, 11
	v_sub_u32_e32 v12, 0x3f1, v9
	v_cndmask_b32_e64 v7, 0, 1, vcc
	v_and_or_b32 v1, v5, s10, v1
	v_sub_u32_e32 v13, 0x3f1, v11
	v_med3_i32 v5, v12, 0, 13
	v_and_or_b32 v7, v10, s10, v7
	v_or_b32_e32 v12, 0x1000, v1
	v_add_u32_e32 v9, 0xfffffc10, v9
	v_med3_i32 v10, v13, 0, 13
	v_cmp_ne_u32_e32 vcc, 0, v1
	v_or_b32_e32 v14, 0x1000, v7
	v_lshrrev_b32_e32 v16, v5, v12
	v_add_u32_e32 v11, 0xfffffc10, v11
	v_lshl_or_b32 v13, v9, 12, v1
	v_cndmask_b32_e64 v1, 0, 1, vcc
	v_cmp_ne_u32_e32 vcc, 0, v7
	v_lshrrev_b32_e32 v17, v10, v14
	v_lshlrev_b32_e32 v5, v5, v16
	v_lshl_or_b32 v15, v11, 12, v7
	v_cndmask_b32_e64 v7, 0, 1, vcc
	v_lshlrev_b32_e32 v10, v10, v17
	v_cmp_ne_u32_e32 vcc, v5, v12
	v_cndmask_b32_e64 v5, 0, 1, vcc
	v_cmp_ne_u32_e32 vcc, v10, v14
	v_cndmask_b32_e64 v10, 0, 1, vcc
	v_or_b32_e32 v5, v16, v5
	v_cmp_gt_i32_e32 vcc, 1, v9
	v_cndmask_b32_e32 v5, v13, v5, vcc
	v_or_b32_e32 v10, v17, v10
	v_cmp_gt_i32_e32 vcc, 1, v11
	v_and_b32_e32 v12, 7, v5
	v_cndmask_b32_e32 v10, v15, v10, vcc
	v_cmp_lt_i32_e32 vcc, 5, v12
	v_cmp_eq_u32_e64 s[0:1], 3, v12
	v_lshrrev_b32_e32 v5, 2, v5
	v_and_b32_e32 v13, 7, v10
	s_or_b64 vcc, s[0:1], vcc
	v_cmp_lt_i32_e64 s[2:3], 5, v13
	v_cmp_eq_u32_e64 s[4:5], 3, v13
	v_addc_co_u32_e32 v5, vcc, 0, v5, vcc
	v_lshrrev_b32_e32 v10, 2, v10
	s_or_b64 vcc, s[4:5], s[2:3]
	v_addc_co_u32_e32 v10, vcc, 0, v10, vcc
	v_cmp_gt_i32_e32 vcc, 31, v9
	v_cndmask_b32_e32 v5, v0, v5, vcc
	v_cmp_gt_i32_e32 vcc, 31, v11
	v_lshl_or_b32 v1, v1, 9, v0
	v_cndmask_b32_e32 v10, v0, v10, vcc
	v_cmp_eq_u32_e32 vcc, s18, v9
	v_lshrrev_b32_e32 v6, 16, v6
	v_lshl_or_b32 v7, v7, 9, v0
	v_cndmask_b32_e32 v1, v5, v1, vcc
	v_cmp_eq_u32_e32 vcc, s18, v11
	v_lshrrev_b32_e32 v8, 16, v8
	v_cndmask_b32_e32 v5, v10, v7, vcc
	v_and_or_b32 v1, v6, s17, v1
	v_and_or_b32 v5, v8, s17, v5
	v_and_b32_e32 v1, 0xffff, v1
	v_lshl_or_b32 v1, v5, 16, v1
	global_store_dword v[3:4], v1, off
	global_load_dword v1, v36, s[6:7] offset:2112
	v_lshrrev_b32_e32 v5, 16, v2
	v_mov_b32_e32 v7, s9
	v_add_co_u32_e32 v3, vcc, s8, v3
	v_addc_co_u32_e32 v4, vcc, v4, v7, vcc
	s_waitcnt vmcnt(0)
	v_mul_f16_sdwa v6, v5, v1 dst_sel:DWORD dst_unused:UNUSED_PAD src0_sel:DWORD src1_sel:WORD_1
	v_fma_f16 v6, v2, v1, v6
	v_mul_f16_sdwa v2, v2, v1 dst_sel:DWORD dst_unused:UNUSED_PAD src0_sel:DWORD src1_sel:WORD_1
	v_cvt_f32_f16_e32 v6, v6
	v_fma_f16 v1, v1, v5, -v2
	v_cvt_f32_f16_e32 v5, v1
	v_cvt_f64_f32_e32 v[1:2], v6
	v_cvt_f64_f32_e32 v[5:6], v5
	v_mul_f64 v[1:2], v[1:2], s[14:15]
	v_mul_f64 v[5:6], v[5:6], s[14:15]
	v_and_or_b32 v1, v2, s16, v1
	v_cmp_ne_u32_e32 vcc, 0, v1
	v_and_or_b32 v5, v6, s16, v5
	v_lshrrev_b32_e32 v7, 8, v2
	v_bfe_u32 v8, v2, 20, 11
	v_cndmask_b32_e64 v1, 0, 1, vcc
	v_cmp_ne_u32_e32 vcc, 0, v5
	v_lshrrev_b32_e32 v9, 8, v6
	v_bfe_u32 v10, v6, 20, 11
	v_sub_u32_e32 v11, 0x3f1, v8
	v_cndmask_b32_e64 v5, 0, 1, vcc
	v_and_or_b32 v1, v7, s10, v1
	v_sub_u32_e32 v12, 0x3f1, v10
	v_med3_i32 v7, v11, 0, 13
	v_and_or_b32 v5, v9, s10, v5
	v_or_b32_e32 v11, 0x1000, v1
	v_add_u32_e32 v8, 0xfffffc10, v8
	v_med3_i32 v9, v12, 0, 13
	v_cmp_ne_u32_e32 vcc, 0, v1
	v_or_b32_e32 v13, 0x1000, v5
	v_lshrrev_b32_e32 v15, v7, v11
	v_add_u32_e32 v10, 0xfffffc10, v10
	v_lshl_or_b32 v12, v8, 12, v1
	v_cndmask_b32_e64 v1, 0, 1, vcc
	v_cmp_ne_u32_e32 vcc, 0, v5
	v_lshrrev_b32_e32 v16, v9, v13
	v_lshlrev_b32_e32 v7, v7, v15
	v_lshl_or_b32 v14, v10, 12, v5
	v_cndmask_b32_e64 v5, 0, 1, vcc
	v_lshlrev_b32_e32 v9, v9, v16
	v_cmp_ne_u32_e32 vcc, v7, v11
	v_cndmask_b32_e64 v7, 0, 1, vcc
	v_cmp_ne_u32_e32 vcc, v9, v13
	v_cndmask_b32_e64 v9, 0, 1, vcc
	v_or_b32_e32 v7, v15, v7
	v_cmp_gt_i32_e32 vcc, 1, v8
	v_cndmask_b32_e32 v7, v12, v7, vcc
	v_or_b32_e32 v9, v16, v9
	v_cmp_gt_i32_e32 vcc, 1, v10
	v_and_b32_e32 v11, 7, v7
	v_cndmask_b32_e32 v9, v14, v9, vcc
	v_cmp_lt_i32_e32 vcc, 5, v11
	v_cmp_eq_u32_e64 s[0:1], 3, v11
	v_lshrrev_b32_e32 v7, 2, v7
	v_and_b32_e32 v12, 7, v9
	s_or_b64 vcc, s[0:1], vcc
	v_cmp_lt_i32_e64 s[2:3], 5, v12
	v_cmp_eq_u32_e64 s[4:5], 3, v12
	v_addc_co_u32_e32 v7, vcc, 0, v7, vcc
	v_lshrrev_b32_e32 v9, 2, v9
	s_or_b64 vcc, s[4:5], s[2:3]
	v_addc_co_u32_e32 v9, vcc, 0, v9, vcc
	v_cmp_gt_i32_e32 vcc, 31, v8
	v_cndmask_b32_e32 v7, v0, v7, vcc
	v_cmp_gt_i32_e32 vcc, 31, v10
	v_lshl_or_b32 v1, v1, 9, v0
	v_cndmask_b32_e32 v9, v0, v9, vcc
	v_cmp_eq_u32_e32 vcc, s18, v8
	v_lshrrev_b32_e32 v2, 16, v2
	v_lshl_or_b32 v5, v5, 9, v0
	v_cndmask_b32_e32 v1, v7, v1, vcc
	v_cmp_eq_u32_e32 vcc, s18, v10
	v_lshrrev_b32_e32 v6, 16, v6
	v_cndmask_b32_e32 v5, v9, v5, vcc
	v_and_or_b32 v1, v2, s17, v1
	v_and_or_b32 v2, v6, s17, v5
	v_and_b32_e32 v1, 0xffff, v1
	v_lshl_or_b32 v1, v2, 16, v1
	global_store_dword v[3:4], v1, off
	global_load_dword v5, v36, s[6:7] offset:2376
	v_add_u32_e32 v1, 0x800, v38
	ds_read2_b32 v[1:2], v1 offset0:82 offset1:148
	v_add_co_u32_e32 v3, vcc, s8, v3
	s_waitcnt lgkmcnt(0)
	v_lshrrev_b32_e32 v6, 16, v1
	s_waitcnt vmcnt(0)
	v_mul_f16_sdwa v7, v6, v5 dst_sel:DWORD dst_unused:UNUSED_PAD src0_sel:DWORD src1_sel:WORD_1
	v_fma_f16 v7, v1, v5, v7
	v_mul_f16_sdwa v1, v1, v5 dst_sel:DWORD dst_unused:UNUSED_PAD src0_sel:DWORD src1_sel:WORD_1
	v_cvt_f32_f16_e32 v7, v7
	v_fma_f16 v1, v5, v6, -v1
	v_cvt_f32_f16_e32 v1, v1
	v_cvt_f64_f32_e32 v[5:6], v7
	v_cvt_f64_f32_e32 v[7:8], v1
	v_mov_b32_e32 v1, s9
	v_mul_f64 v[5:6], v[5:6], s[14:15]
	v_addc_co_u32_e32 v4, vcc, v4, v1, vcc
	v_mul_f64 v[7:8], v[7:8], s[14:15]
	v_and_or_b32 v1, v6, s16, v5
	v_cmp_ne_u32_e32 vcc, 0, v1
	v_lshrrev_b32_e32 v5, 8, v6
	v_and_or_b32 v7, v8, s16, v7
	v_bfe_u32 v9, v6, 20, 11
	v_cndmask_b32_e64 v1, 0, 1, vcc
	v_cmp_ne_u32_e32 vcc, 0, v7
	v_lshrrev_b32_e32 v10, 8, v8
	v_bfe_u32 v11, v8, 20, 11
	v_sub_u32_e32 v12, 0x3f1, v9
	v_cndmask_b32_e64 v7, 0, 1, vcc
	v_and_or_b32 v1, v5, s10, v1
	v_sub_u32_e32 v13, 0x3f1, v11
	v_med3_i32 v5, v12, 0, 13
	v_and_or_b32 v7, v10, s10, v7
	v_or_b32_e32 v12, 0x1000, v1
	v_add_u32_e32 v9, 0xfffffc10, v9
	v_med3_i32 v10, v13, 0, 13
	v_cmp_ne_u32_e32 vcc, 0, v1
	v_or_b32_e32 v14, 0x1000, v7
	v_lshrrev_b32_e32 v16, v5, v12
	v_add_u32_e32 v11, 0xfffffc10, v11
	v_lshl_or_b32 v13, v9, 12, v1
	v_cndmask_b32_e64 v1, 0, 1, vcc
	v_cmp_ne_u32_e32 vcc, 0, v7
	v_lshrrev_b32_e32 v17, v10, v14
	v_lshlrev_b32_e32 v5, v5, v16
	v_lshl_or_b32 v15, v11, 12, v7
	v_cndmask_b32_e64 v7, 0, 1, vcc
	v_lshlrev_b32_e32 v10, v10, v17
	v_cmp_ne_u32_e32 vcc, v5, v12
	v_cndmask_b32_e64 v5, 0, 1, vcc
	v_cmp_ne_u32_e32 vcc, v10, v14
	v_cndmask_b32_e64 v10, 0, 1, vcc
	v_or_b32_e32 v5, v16, v5
	v_cmp_gt_i32_e32 vcc, 1, v9
	v_cndmask_b32_e32 v5, v13, v5, vcc
	v_or_b32_e32 v10, v17, v10
	v_cmp_gt_i32_e32 vcc, 1, v11
	v_and_b32_e32 v12, 7, v5
	v_cndmask_b32_e32 v10, v15, v10, vcc
	v_cmp_lt_i32_e32 vcc, 5, v12
	v_cmp_eq_u32_e64 s[0:1], 3, v12
	v_lshrrev_b32_e32 v5, 2, v5
	v_and_b32_e32 v13, 7, v10
	s_or_b64 vcc, s[0:1], vcc
	v_cmp_lt_i32_e64 s[2:3], 5, v13
	v_cmp_eq_u32_e64 s[4:5], 3, v13
	v_addc_co_u32_e32 v5, vcc, 0, v5, vcc
	v_lshrrev_b32_e32 v10, 2, v10
	s_or_b64 vcc, s[4:5], s[2:3]
	v_addc_co_u32_e32 v10, vcc, 0, v10, vcc
	v_cmp_gt_i32_e32 vcc, 31, v9
	v_cndmask_b32_e32 v5, v0, v5, vcc
	v_cmp_gt_i32_e32 vcc, 31, v11
	v_lshl_or_b32 v1, v1, 9, v0
	v_cndmask_b32_e32 v10, v0, v10, vcc
	v_cmp_eq_u32_e32 vcc, s18, v9
	v_lshrrev_b32_e32 v6, 16, v6
	v_lshl_or_b32 v7, v7, 9, v0
	v_cndmask_b32_e32 v1, v5, v1, vcc
	v_cmp_eq_u32_e32 vcc, s18, v11
	v_lshrrev_b32_e32 v8, 16, v8
	v_cndmask_b32_e32 v5, v10, v7, vcc
	v_and_or_b32 v1, v6, s17, v1
	v_and_or_b32 v5, v8, s17, v5
	v_and_b32_e32 v1, 0xffff, v1
	v_lshl_or_b32 v1, v5, 16, v1
	global_store_dword v[3:4], v1, off
	global_load_dword v1, v36, s[6:7] offset:2640
	v_lshrrev_b32_e32 v5, 16, v2
	v_mov_b32_e32 v7, s9
	v_add_co_u32_e32 v3, vcc, s8, v3
	v_addc_co_u32_e32 v4, vcc, v4, v7, vcc
	s_waitcnt vmcnt(0)
	v_mul_f16_sdwa v6, v5, v1 dst_sel:DWORD dst_unused:UNUSED_PAD src0_sel:DWORD src1_sel:WORD_1
	v_fma_f16 v6, v2, v1, v6
	v_mul_f16_sdwa v2, v2, v1 dst_sel:DWORD dst_unused:UNUSED_PAD src0_sel:DWORD src1_sel:WORD_1
	v_cvt_f32_f16_e32 v6, v6
	v_fma_f16 v1, v1, v5, -v2
	v_cvt_f32_f16_e32 v5, v1
	v_cvt_f64_f32_e32 v[1:2], v6
	v_cvt_f64_f32_e32 v[5:6], v5
	v_mul_f64 v[1:2], v[1:2], s[14:15]
	v_mul_f64 v[5:6], v[5:6], s[14:15]
	v_and_or_b32 v1, v2, s16, v1
	v_cmp_ne_u32_e32 vcc, 0, v1
	v_and_or_b32 v5, v6, s16, v5
	v_lshrrev_b32_e32 v7, 8, v2
	v_bfe_u32 v8, v2, 20, 11
	v_cndmask_b32_e64 v1, 0, 1, vcc
	v_cmp_ne_u32_e32 vcc, 0, v5
	v_lshrrev_b32_e32 v9, 8, v6
	v_bfe_u32 v10, v6, 20, 11
	v_sub_u32_e32 v11, 0x3f1, v8
	v_cndmask_b32_e64 v5, 0, 1, vcc
	v_and_or_b32 v1, v7, s10, v1
	v_sub_u32_e32 v12, 0x3f1, v10
	v_med3_i32 v7, v11, 0, 13
	v_and_or_b32 v5, v9, s10, v5
	v_or_b32_e32 v11, 0x1000, v1
	v_add_u32_e32 v8, 0xfffffc10, v8
	v_med3_i32 v9, v12, 0, 13
	v_cmp_ne_u32_e32 vcc, 0, v1
	v_or_b32_e32 v13, 0x1000, v5
	v_lshrrev_b32_e32 v15, v7, v11
	v_add_u32_e32 v10, 0xfffffc10, v10
	v_lshl_or_b32 v12, v8, 12, v1
	v_cndmask_b32_e64 v1, 0, 1, vcc
	v_cmp_ne_u32_e32 vcc, 0, v5
	v_lshrrev_b32_e32 v16, v9, v13
	v_lshlrev_b32_e32 v7, v7, v15
	v_lshl_or_b32 v14, v10, 12, v5
	v_cndmask_b32_e64 v5, 0, 1, vcc
	v_lshlrev_b32_e32 v9, v9, v16
	v_cmp_ne_u32_e32 vcc, v7, v11
	v_cndmask_b32_e64 v7, 0, 1, vcc
	v_cmp_ne_u32_e32 vcc, v9, v13
	v_cndmask_b32_e64 v9, 0, 1, vcc
	v_or_b32_e32 v7, v15, v7
	v_cmp_gt_i32_e32 vcc, 1, v8
	v_cndmask_b32_e32 v7, v12, v7, vcc
	v_or_b32_e32 v9, v16, v9
	v_cmp_gt_i32_e32 vcc, 1, v10
	v_and_b32_e32 v11, 7, v7
	v_cndmask_b32_e32 v9, v14, v9, vcc
	v_cmp_lt_i32_e32 vcc, 5, v11
	v_cmp_eq_u32_e64 s[0:1], 3, v11
	v_lshrrev_b32_e32 v7, 2, v7
	v_and_b32_e32 v12, 7, v9
	s_or_b64 vcc, s[0:1], vcc
	v_cmp_lt_i32_e64 s[2:3], 5, v12
	v_cmp_eq_u32_e64 s[4:5], 3, v12
	v_addc_co_u32_e32 v7, vcc, 0, v7, vcc
	v_lshrrev_b32_e32 v9, 2, v9
	s_or_b64 vcc, s[4:5], s[2:3]
	v_addc_co_u32_e32 v9, vcc, 0, v9, vcc
	v_cmp_gt_i32_e32 vcc, 31, v8
	v_cndmask_b32_e32 v7, v0, v7, vcc
	v_cmp_gt_i32_e32 vcc, 31, v10
	v_lshl_or_b32 v1, v1, 9, v0
	v_cndmask_b32_e32 v9, v0, v9, vcc
	v_cmp_eq_u32_e32 vcc, s18, v8
	v_lshrrev_b32_e32 v2, 16, v2
	v_lshl_or_b32 v5, v5, 9, v0
	v_cndmask_b32_e32 v1, v7, v1, vcc
	v_cmp_eq_u32_e32 vcc, s18, v10
	v_lshrrev_b32_e32 v6, 16, v6
	v_cndmask_b32_e32 v5, v9, v5, vcc
	v_and_or_b32 v1, v2, s17, v1
	v_and_or_b32 v2, v6, s17, v5
	v_and_b32_e32 v1, 0xffff, v1
	v_lshl_or_b32 v1, v2, 16, v1
	global_store_dword v[3:4], v1, off
	global_load_dword v5, v36, s[6:7] offset:2904
	v_add_u32_e32 v1, 0xa00, v38
	ds_read2_b32 v[1:2], v1 offset0:86 offset1:152
	v_add_co_u32_e32 v3, vcc, s8, v3
	s_waitcnt lgkmcnt(0)
	v_lshrrev_b32_e32 v6, 16, v1
	s_waitcnt vmcnt(0)
	v_mul_f16_sdwa v7, v6, v5 dst_sel:DWORD dst_unused:UNUSED_PAD src0_sel:DWORD src1_sel:WORD_1
	v_fma_f16 v7, v1, v5, v7
	v_mul_f16_sdwa v1, v1, v5 dst_sel:DWORD dst_unused:UNUSED_PAD src0_sel:DWORD src1_sel:WORD_1
	v_cvt_f32_f16_e32 v7, v7
	v_fma_f16 v1, v5, v6, -v1
	v_cvt_f32_f16_e32 v1, v1
	v_cvt_f64_f32_e32 v[5:6], v7
	v_cvt_f64_f32_e32 v[7:8], v1
	v_mov_b32_e32 v1, s9
	v_mul_f64 v[5:6], v[5:6], s[14:15]
	v_addc_co_u32_e32 v4, vcc, v4, v1, vcc
	v_mul_f64 v[7:8], v[7:8], s[14:15]
	v_and_or_b32 v1, v6, s16, v5
	v_cmp_ne_u32_e32 vcc, 0, v1
	v_lshrrev_b32_e32 v5, 8, v6
	v_and_or_b32 v7, v8, s16, v7
	v_bfe_u32 v9, v6, 20, 11
	v_cndmask_b32_e64 v1, 0, 1, vcc
	v_cmp_ne_u32_e32 vcc, 0, v7
	v_lshrrev_b32_e32 v10, 8, v8
	v_bfe_u32 v11, v8, 20, 11
	v_sub_u32_e32 v12, 0x3f1, v9
	v_cndmask_b32_e64 v7, 0, 1, vcc
	v_and_or_b32 v1, v5, s10, v1
	v_sub_u32_e32 v13, 0x3f1, v11
	v_med3_i32 v5, v12, 0, 13
	v_and_or_b32 v7, v10, s10, v7
	v_or_b32_e32 v12, 0x1000, v1
	v_add_u32_e32 v9, 0xfffffc10, v9
	v_med3_i32 v10, v13, 0, 13
	v_cmp_ne_u32_e32 vcc, 0, v1
	v_or_b32_e32 v14, 0x1000, v7
	v_lshrrev_b32_e32 v16, v5, v12
	v_add_u32_e32 v11, 0xfffffc10, v11
	v_lshl_or_b32 v13, v9, 12, v1
	v_cndmask_b32_e64 v1, 0, 1, vcc
	v_cmp_ne_u32_e32 vcc, 0, v7
	v_lshrrev_b32_e32 v17, v10, v14
	v_lshlrev_b32_e32 v5, v5, v16
	v_lshl_or_b32 v15, v11, 12, v7
	v_cndmask_b32_e64 v7, 0, 1, vcc
	v_lshlrev_b32_e32 v10, v10, v17
	v_cmp_ne_u32_e32 vcc, v5, v12
	v_cndmask_b32_e64 v5, 0, 1, vcc
	v_cmp_ne_u32_e32 vcc, v10, v14
	v_cndmask_b32_e64 v10, 0, 1, vcc
	v_or_b32_e32 v5, v16, v5
	v_cmp_gt_i32_e32 vcc, 1, v9
	v_cndmask_b32_e32 v5, v13, v5, vcc
	v_or_b32_e32 v10, v17, v10
	v_cmp_gt_i32_e32 vcc, 1, v11
	v_and_b32_e32 v12, 7, v5
	v_cndmask_b32_e32 v10, v15, v10, vcc
	v_cmp_lt_i32_e32 vcc, 5, v12
	v_cmp_eq_u32_e64 s[0:1], 3, v12
	v_lshrrev_b32_e32 v5, 2, v5
	v_and_b32_e32 v13, 7, v10
	s_or_b64 vcc, s[0:1], vcc
	v_cmp_lt_i32_e64 s[2:3], 5, v13
	v_cmp_eq_u32_e64 s[4:5], 3, v13
	v_addc_co_u32_e32 v5, vcc, 0, v5, vcc
	v_lshrrev_b32_e32 v10, 2, v10
	s_or_b64 vcc, s[4:5], s[2:3]
	v_addc_co_u32_e32 v10, vcc, 0, v10, vcc
	v_cmp_gt_i32_e32 vcc, 31, v9
	v_cndmask_b32_e32 v5, v0, v5, vcc
	v_cmp_gt_i32_e32 vcc, 31, v11
	v_lshl_or_b32 v1, v1, 9, v0
	v_cndmask_b32_e32 v10, v0, v10, vcc
	v_cmp_eq_u32_e32 vcc, s18, v9
	v_lshrrev_b32_e32 v6, 16, v6
	v_lshl_or_b32 v7, v7, 9, v0
	v_cndmask_b32_e32 v1, v5, v1, vcc
	v_cmp_eq_u32_e32 vcc, s18, v11
	v_lshrrev_b32_e32 v8, 16, v8
	v_cndmask_b32_e32 v5, v10, v7, vcc
	v_and_or_b32 v1, v6, s17, v1
	v_and_or_b32 v5, v8, s17, v5
	v_and_b32_e32 v1, 0xffff, v1
	v_lshl_or_b32 v1, v5, 16, v1
	global_store_dword v[3:4], v1, off
	global_load_dword v1, v36, s[6:7] offset:3168
	v_lshrrev_b32_e32 v5, 16, v2
	v_mov_b32_e32 v7, s9
	v_add_co_u32_e32 v3, vcc, s8, v3
	v_addc_co_u32_e32 v4, vcc, v4, v7, vcc
	s_waitcnt vmcnt(0)
	v_mul_f16_sdwa v6, v5, v1 dst_sel:DWORD dst_unused:UNUSED_PAD src0_sel:DWORD src1_sel:WORD_1
	v_fma_f16 v6, v2, v1, v6
	v_mul_f16_sdwa v2, v2, v1 dst_sel:DWORD dst_unused:UNUSED_PAD src0_sel:DWORD src1_sel:WORD_1
	v_cvt_f32_f16_e32 v6, v6
	v_fma_f16 v1, v1, v5, -v2
	v_cvt_f32_f16_e32 v5, v1
	v_cvt_f64_f32_e32 v[1:2], v6
	v_cvt_f64_f32_e32 v[5:6], v5
	v_mul_f64 v[1:2], v[1:2], s[14:15]
	v_mul_f64 v[5:6], v[5:6], s[14:15]
	v_and_or_b32 v1, v2, s16, v1
	v_cmp_ne_u32_e32 vcc, 0, v1
	v_and_or_b32 v5, v6, s16, v5
	v_lshrrev_b32_e32 v7, 8, v2
	v_bfe_u32 v8, v2, 20, 11
	v_cndmask_b32_e64 v1, 0, 1, vcc
	v_cmp_ne_u32_e32 vcc, 0, v5
	v_lshrrev_b32_e32 v9, 8, v6
	v_bfe_u32 v10, v6, 20, 11
	v_sub_u32_e32 v11, 0x3f1, v8
	v_cndmask_b32_e64 v5, 0, 1, vcc
	v_and_or_b32 v1, v7, s10, v1
	v_sub_u32_e32 v12, 0x3f1, v10
	v_med3_i32 v7, v11, 0, 13
	v_and_or_b32 v5, v9, s10, v5
	v_or_b32_e32 v11, 0x1000, v1
	v_add_u32_e32 v8, 0xfffffc10, v8
	v_med3_i32 v9, v12, 0, 13
	v_cmp_ne_u32_e32 vcc, 0, v1
	v_or_b32_e32 v13, 0x1000, v5
	v_lshrrev_b32_e32 v15, v7, v11
	v_add_u32_e32 v10, 0xfffffc10, v10
	v_lshl_or_b32 v12, v8, 12, v1
	v_cndmask_b32_e64 v1, 0, 1, vcc
	v_cmp_ne_u32_e32 vcc, 0, v5
	v_lshrrev_b32_e32 v16, v9, v13
	v_lshlrev_b32_e32 v7, v7, v15
	v_lshl_or_b32 v14, v10, 12, v5
	v_cndmask_b32_e64 v5, 0, 1, vcc
	v_lshlrev_b32_e32 v9, v9, v16
	v_cmp_ne_u32_e32 vcc, v7, v11
	v_cndmask_b32_e64 v7, 0, 1, vcc
	v_cmp_ne_u32_e32 vcc, v9, v13
	v_cndmask_b32_e64 v9, 0, 1, vcc
	v_or_b32_e32 v7, v15, v7
	v_cmp_gt_i32_e32 vcc, 1, v8
	v_cndmask_b32_e32 v7, v12, v7, vcc
	v_or_b32_e32 v9, v16, v9
	v_cmp_gt_i32_e32 vcc, 1, v10
	v_and_b32_e32 v11, 7, v7
	v_cndmask_b32_e32 v9, v14, v9, vcc
	v_cmp_lt_i32_e32 vcc, 5, v11
	v_cmp_eq_u32_e64 s[0:1], 3, v11
	v_lshrrev_b32_e32 v7, 2, v7
	v_and_b32_e32 v12, 7, v9
	s_or_b64 vcc, s[0:1], vcc
	v_cmp_lt_i32_e64 s[2:3], 5, v12
	v_cmp_eq_u32_e64 s[4:5], 3, v12
	v_addc_co_u32_e32 v7, vcc, 0, v7, vcc
	v_lshrrev_b32_e32 v9, 2, v9
	s_or_b64 vcc, s[4:5], s[2:3]
	v_addc_co_u32_e32 v9, vcc, 0, v9, vcc
	v_cmp_gt_i32_e32 vcc, 31, v8
	v_cndmask_b32_e32 v7, v0, v7, vcc
	v_cmp_gt_i32_e32 vcc, 31, v10
	v_lshl_or_b32 v1, v1, 9, v0
	v_cndmask_b32_e32 v9, v0, v9, vcc
	v_cmp_eq_u32_e32 vcc, s18, v8
	v_lshrrev_b32_e32 v2, 16, v2
	v_lshl_or_b32 v5, v5, 9, v0
	v_cndmask_b32_e32 v1, v7, v1, vcc
	v_cmp_eq_u32_e32 vcc, s18, v10
	v_lshrrev_b32_e32 v6, 16, v6
	v_cndmask_b32_e32 v5, v9, v5, vcc
	v_and_or_b32 v1, v2, s17, v1
	v_and_or_b32 v2, v6, s17, v5
	v_and_b32_e32 v1, 0xffff, v1
	v_lshl_or_b32 v1, v2, 16, v1
	global_store_dword v[3:4], v1, off
	global_load_dword v5, v36, s[6:7] offset:3432
	v_add_u32_e32 v1, 0xc00, v38
	ds_read2_b32 v[1:2], v1 offset0:90 offset1:156
	v_add_co_u32_e32 v3, vcc, s8, v3
	s_waitcnt lgkmcnt(0)
	v_lshrrev_b32_e32 v6, 16, v1
	s_waitcnt vmcnt(0)
	v_mul_f16_sdwa v7, v6, v5 dst_sel:DWORD dst_unused:UNUSED_PAD src0_sel:DWORD src1_sel:WORD_1
	v_fma_f16 v7, v1, v5, v7
	v_mul_f16_sdwa v1, v1, v5 dst_sel:DWORD dst_unused:UNUSED_PAD src0_sel:DWORD src1_sel:WORD_1
	v_cvt_f32_f16_e32 v7, v7
	v_fma_f16 v1, v5, v6, -v1
	v_cvt_f32_f16_e32 v1, v1
	v_cvt_f64_f32_e32 v[5:6], v7
	v_cvt_f64_f32_e32 v[7:8], v1
	v_mov_b32_e32 v1, s9
	v_mul_f64 v[5:6], v[5:6], s[14:15]
	v_addc_co_u32_e32 v4, vcc, v4, v1, vcc
	v_mul_f64 v[7:8], v[7:8], s[14:15]
	v_and_or_b32 v1, v6, s16, v5
	v_cmp_ne_u32_e32 vcc, 0, v1
	v_lshrrev_b32_e32 v5, 8, v6
	v_and_or_b32 v7, v8, s16, v7
	v_bfe_u32 v9, v6, 20, 11
	v_cndmask_b32_e64 v1, 0, 1, vcc
	v_cmp_ne_u32_e32 vcc, 0, v7
	v_lshrrev_b32_e32 v10, 8, v8
	v_bfe_u32 v11, v8, 20, 11
	v_sub_u32_e32 v12, 0x3f1, v9
	v_cndmask_b32_e64 v7, 0, 1, vcc
	v_and_or_b32 v1, v5, s10, v1
	v_sub_u32_e32 v13, 0x3f1, v11
	v_med3_i32 v5, v12, 0, 13
	v_and_or_b32 v7, v10, s10, v7
	v_or_b32_e32 v12, 0x1000, v1
	v_add_u32_e32 v9, 0xfffffc10, v9
	v_med3_i32 v10, v13, 0, 13
	v_cmp_ne_u32_e32 vcc, 0, v1
	v_or_b32_e32 v14, 0x1000, v7
	v_lshrrev_b32_e32 v16, v5, v12
	v_add_u32_e32 v11, 0xfffffc10, v11
	v_lshl_or_b32 v13, v9, 12, v1
	v_cndmask_b32_e64 v1, 0, 1, vcc
	v_cmp_ne_u32_e32 vcc, 0, v7
	v_lshrrev_b32_e32 v17, v10, v14
	v_lshlrev_b32_e32 v5, v5, v16
	v_lshl_or_b32 v15, v11, 12, v7
	v_cndmask_b32_e64 v7, 0, 1, vcc
	v_lshlrev_b32_e32 v10, v10, v17
	v_cmp_ne_u32_e32 vcc, v5, v12
	v_cndmask_b32_e64 v5, 0, 1, vcc
	v_cmp_ne_u32_e32 vcc, v10, v14
	v_cndmask_b32_e64 v10, 0, 1, vcc
	v_or_b32_e32 v5, v16, v5
	v_cmp_gt_i32_e32 vcc, 1, v9
	v_cndmask_b32_e32 v5, v13, v5, vcc
	v_or_b32_e32 v10, v17, v10
	v_cmp_gt_i32_e32 vcc, 1, v11
	v_and_b32_e32 v12, 7, v5
	v_cndmask_b32_e32 v10, v15, v10, vcc
	v_cmp_lt_i32_e32 vcc, 5, v12
	v_cmp_eq_u32_e64 s[0:1], 3, v12
	v_lshrrev_b32_e32 v5, 2, v5
	v_and_b32_e32 v13, 7, v10
	s_or_b64 vcc, s[0:1], vcc
	v_cmp_lt_i32_e64 s[2:3], 5, v13
	v_cmp_eq_u32_e64 s[4:5], 3, v13
	v_addc_co_u32_e32 v5, vcc, 0, v5, vcc
	v_lshrrev_b32_e32 v10, 2, v10
	s_or_b64 vcc, s[4:5], s[2:3]
	v_addc_co_u32_e32 v10, vcc, 0, v10, vcc
	v_cmp_gt_i32_e32 vcc, 31, v9
	v_cndmask_b32_e32 v5, v0, v5, vcc
	v_cmp_gt_i32_e32 vcc, 31, v11
	v_lshl_or_b32 v1, v1, 9, v0
	v_cndmask_b32_e32 v10, v0, v10, vcc
	v_cmp_eq_u32_e32 vcc, s18, v9
	v_lshrrev_b32_e32 v6, 16, v6
	v_lshl_or_b32 v7, v7, 9, v0
	v_cndmask_b32_e32 v1, v5, v1, vcc
	v_cmp_eq_u32_e32 vcc, s18, v11
	v_lshrrev_b32_e32 v8, 16, v8
	v_cndmask_b32_e32 v5, v10, v7, vcc
	v_and_or_b32 v1, v6, s17, v1
	v_and_or_b32 v5, v8, s17, v5
	v_and_b32_e32 v1, 0xffff, v1
	v_lshl_or_b32 v1, v5, 16, v1
	global_store_dword v[3:4], v1, off
	global_load_dword v1, v36, s[6:7] offset:3696
	v_lshrrev_b32_e32 v5, 16, v2
	v_mov_b32_e32 v7, s9
	v_add_co_u32_e32 v3, vcc, s8, v3
	v_addc_co_u32_e32 v4, vcc, v4, v7, vcc
	s_waitcnt vmcnt(0)
	v_mul_f16_sdwa v6, v5, v1 dst_sel:DWORD dst_unused:UNUSED_PAD src0_sel:DWORD src1_sel:WORD_1
	v_fma_f16 v6, v2, v1, v6
	v_mul_f16_sdwa v2, v2, v1 dst_sel:DWORD dst_unused:UNUSED_PAD src0_sel:DWORD src1_sel:WORD_1
	v_cvt_f32_f16_e32 v6, v6
	v_fma_f16 v1, v1, v5, -v2
	v_cvt_f32_f16_e32 v5, v1
	v_cvt_f64_f32_e32 v[1:2], v6
	v_cvt_f64_f32_e32 v[5:6], v5
	v_mul_f64 v[1:2], v[1:2], s[14:15]
	v_mul_f64 v[5:6], v[5:6], s[14:15]
	v_and_or_b32 v1, v2, s16, v1
	v_cmp_ne_u32_e32 vcc, 0, v1
	v_and_or_b32 v5, v6, s16, v5
	v_lshrrev_b32_e32 v7, 8, v2
	v_bfe_u32 v8, v2, 20, 11
	v_cndmask_b32_e64 v1, 0, 1, vcc
	v_cmp_ne_u32_e32 vcc, 0, v5
	v_lshrrev_b32_e32 v9, 8, v6
	v_bfe_u32 v10, v6, 20, 11
	v_sub_u32_e32 v11, 0x3f1, v8
	v_cndmask_b32_e64 v5, 0, 1, vcc
	v_and_or_b32 v1, v7, s10, v1
	v_sub_u32_e32 v12, 0x3f1, v10
	v_med3_i32 v7, v11, 0, 13
	v_and_or_b32 v5, v9, s10, v5
	v_or_b32_e32 v11, 0x1000, v1
	v_add_u32_e32 v8, 0xfffffc10, v8
	v_med3_i32 v9, v12, 0, 13
	v_cmp_ne_u32_e32 vcc, 0, v1
	v_or_b32_e32 v13, 0x1000, v5
	v_lshrrev_b32_e32 v15, v7, v11
	v_add_u32_e32 v10, 0xfffffc10, v10
	v_lshl_or_b32 v12, v8, 12, v1
	v_cndmask_b32_e64 v1, 0, 1, vcc
	v_cmp_ne_u32_e32 vcc, 0, v5
	v_lshrrev_b32_e32 v16, v9, v13
	v_lshlrev_b32_e32 v7, v7, v15
	v_lshl_or_b32 v14, v10, 12, v5
	v_cndmask_b32_e64 v5, 0, 1, vcc
	v_lshlrev_b32_e32 v9, v9, v16
	v_cmp_ne_u32_e32 vcc, v7, v11
	v_cndmask_b32_e64 v7, 0, 1, vcc
	v_cmp_ne_u32_e32 vcc, v9, v13
	v_cndmask_b32_e64 v9, 0, 1, vcc
	v_or_b32_e32 v7, v15, v7
	v_cmp_gt_i32_e32 vcc, 1, v8
	v_cndmask_b32_e32 v7, v12, v7, vcc
	v_or_b32_e32 v9, v16, v9
	v_cmp_gt_i32_e32 vcc, 1, v10
	v_and_b32_e32 v11, 7, v7
	v_cndmask_b32_e32 v9, v14, v9, vcc
	v_cmp_lt_i32_e32 vcc, 5, v11
	v_cmp_eq_u32_e64 s[0:1], 3, v11
	v_lshrrev_b32_e32 v7, 2, v7
	v_and_b32_e32 v12, 7, v9
	s_or_b64 vcc, s[0:1], vcc
	v_cmp_lt_i32_e64 s[2:3], 5, v12
	v_cmp_eq_u32_e64 s[4:5], 3, v12
	v_addc_co_u32_e32 v7, vcc, 0, v7, vcc
	v_lshrrev_b32_e32 v9, 2, v9
	s_or_b64 vcc, s[4:5], s[2:3]
	v_addc_co_u32_e32 v9, vcc, 0, v9, vcc
	v_cmp_gt_i32_e32 vcc, 31, v8
	v_cndmask_b32_e32 v7, v0, v7, vcc
	v_cmp_gt_i32_e32 vcc, 31, v10
	v_lshl_or_b32 v1, v1, 9, v0
	v_cndmask_b32_e32 v9, v0, v9, vcc
	v_cmp_eq_u32_e32 vcc, s18, v8
	v_lshrrev_b32_e32 v2, 16, v2
	v_lshl_or_b32 v5, v5, 9, v0
	v_cndmask_b32_e32 v1, v7, v1, vcc
	v_cmp_eq_u32_e32 vcc, s18, v10
	v_lshrrev_b32_e32 v6, 16, v6
	v_cndmask_b32_e32 v5, v9, v5, vcc
	v_and_or_b32 v1, v2, s17, v1
	v_and_or_b32 v2, v6, s17, v5
	v_and_b32_e32 v1, 0xffff, v1
	v_lshl_or_b32 v1, v2, 16, v1
	global_store_dword v[3:4], v1, off
	global_load_dword v5, v36, s[6:7] offset:3960
	v_add_u32_e32 v1, 0xe00, v38
	ds_read2_b32 v[1:2], v1 offset0:94 offset1:160
	v_mov_b32_e32 v7, s7
	v_add_co_u32_e32 v9, vcc, s6, v36
	v_addc_co_u32_e32 v10, vcc, 0, v7, vcc
	s_waitcnt lgkmcnt(0)
	v_lshrrev_b32_e32 v6, 16, v1
	s_movk_i32 s0, 0x1000
	v_add_co_u32_e32 v9, vcc, s0, v9
	v_addc_co_u32_e32 v10, vcc, 0, v10, vcc
	v_mov_b32_e32 v11, s9
	v_add_co_u32_e32 v3, vcc, s8, v3
	v_addc_co_u32_e32 v4, vcc, v4, v11, vcc
	s_waitcnt vmcnt(0)
	v_mul_f16_sdwa v8, v6, v5 dst_sel:DWORD dst_unused:UNUSED_PAD src0_sel:DWORD src1_sel:WORD_1
	v_fma_f16 v8, v1, v5, v8
	v_mul_f16_sdwa v1, v1, v5 dst_sel:DWORD dst_unused:UNUSED_PAD src0_sel:DWORD src1_sel:WORD_1
	v_cvt_f32_f16_e32 v8, v8
	v_fma_f16 v1, v5, v6, -v1
	v_cvt_f32_f16_e32 v1, v1
	v_cvt_f64_f32_e32 v[5:6], v8
	v_cvt_f64_f32_e32 v[7:8], v1
	v_mul_f64 v[5:6], v[5:6], s[14:15]
	v_mul_f64 v[7:8], v[7:8], s[14:15]
	v_and_or_b32 v1, v6, s16, v5
	v_cmp_ne_u32_e32 vcc, 0, v1
	v_and_or_b32 v7, v8, s16, v7
	v_lshrrev_b32_e32 v5, 8, v6
	v_bfe_u32 v11, v6, 20, 11
	v_cndmask_b32_e64 v1, 0, 1, vcc
	v_cmp_ne_u32_e32 vcc, 0, v7
	v_lshrrev_b32_e32 v12, 8, v8
	v_bfe_u32 v13, v8, 20, 11
	v_sub_u32_e32 v14, 0x3f1, v11
	v_cndmask_b32_e64 v7, 0, 1, vcc
	v_and_or_b32 v1, v5, s10, v1
	v_sub_u32_e32 v15, 0x3f1, v13
	v_med3_i32 v5, v14, 0, 13
	v_and_or_b32 v7, v12, s10, v7
	v_or_b32_e32 v14, 0x1000, v1
	v_add_u32_e32 v11, 0xfffffc10, v11
	v_med3_i32 v12, v15, 0, 13
	v_cmp_ne_u32_e32 vcc, 0, v1
	v_or_b32_e32 v16, 0x1000, v7
	v_lshrrev_b32_e32 v18, v5, v14
	v_add_u32_e32 v13, 0xfffffc10, v13
	v_lshl_or_b32 v15, v11, 12, v1
	v_cndmask_b32_e64 v1, 0, 1, vcc
	v_cmp_ne_u32_e32 vcc, 0, v7
	v_lshrrev_b32_e32 v19, v12, v16
	v_lshlrev_b32_e32 v5, v5, v18
	v_lshl_or_b32 v17, v13, 12, v7
	v_cndmask_b32_e64 v7, 0, 1, vcc
	v_lshlrev_b32_e32 v12, v12, v19
	v_cmp_ne_u32_e32 vcc, v5, v14
	v_cndmask_b32_e64 v5, 0, 1, vcc
	v_cmp_ne_u32_e32 vcc, v12, v16
	v_cndmask_b32_e64 v12, 0, 1, vcc
	v_or_b32_e32 v5, v18, v5
	v_cmp_gt_i32_e32 vcc, 1, v11
	v_cndmask_b32_e32 v5, v15, v5, vcc
	v_or_b32_e32 v12, v19, v12
	v_cmp_gt_i32_e32 vcc, 1, v13
	v_and_b32_e32 v14, 7, v5
	v_cndmask_b32_e32 v12, v17, v12, vcc
	v_cmp_lt_i32_e32 vcc, 5, v14
	v_cmp_eq_u32_e64 s[0:1], 3, v14
	v_lshrrev_b32_e32 v5, 2, v5
	v_and_b32_e32 v15, 7, v12
	s_or_b64 vcc, s[0:1], vcc
	v_cmp_lt_i32_e64 s[2:3], 5, v15
	v_cmp_eq_u32_e64 s[4:5], 3, v15
	v_addc_co_u32_e32 v5, vcc, 0, v5, vcc
	v_lshrrev_b32_e32 v12, 2, v12
	s_or_b64 vcc, s[4:5], s[2:3]
	v_addc_co_u32_e32 v12, vcc, 0, v12, vcc
	v_cmp_gt_i32_e32 vcc, 31, v11
	v_cndmask_b32_e32 v5, v0, v5, vcc
	v_cmp_gt_i32_e32 vcc, 31, v13
	v_lshl_or_b32 v1, v1, 9, v0
	v_cndmask_b32_e32 v12, v0, v12, vcc
	v_cmp_eq_u32_e32 vcc, s18, v11
	v_lshrrev_b32_e32 v6, 16, v6
	v_lshl_or_b32 v7, v7, 9, v0
	v_cndmask_b32_e32 v1, v5, v1, vcc
	v_cmp_eq_u32_e32 vcc, s18, v13
	v_lshrrev_b32_e32 v8, 16, v8
	v_cndmask_b32_e32 v5, v12, v7, vcc
	v_and_or_b32 v1, v6, s17, v1
	v_and_or_b32 v5, v8, s17, v5
	v_and_b32_e32 v1, 0xffff, v1
	v_lshl_or_b32 v1, v5, 16, v1
	global_store_dword v[3:4], v1, off
	global_load_dword v1, v[9:10], off offset:128
	v_lshrrev_b32_e32 v5, 16, v2
	v_mov_b32_e32 v7, s9
	s_waitcnt vmcnt(0)
	v_mul_f16_sdwa v6, v5, v1 dst_sel:DWORD dst_unused:UNUSED_PAD src0_sel:DWORD src1_sel:WORD_1
	v_fma_f16 v6, v2, v1, v6
	v_mul_f16_sdwa v2, v2, v1 dst_sel:DWORD dst_unused:UNUSED_PAD src0_sel:DWORD src1_sel:WORD_1
	v_cvt_f32_f16_e32 v6, v6
	v_fma_f16 v1, v1, v5, -v2
	v_cvt_f32_f16_e32 v5, v1
	v_cvt_f64_f32_e32 v[1:2], v6
	v_cvt_f64_f32_e32 v[5:6], v5
	v_mul_f64 v[1:2], v[1:2], s[14:15]
	v_mul_f64 v[5:6], v[5:6], s[14:15]
	v_and_or_b32 v1, v2, s16, v1
	v_cmp_ne_u32_e32 vcc, 0, v1
	v_and_or_b32 v5, v6, s16, v5
	v_lshrrev_b32_e32 v8, 8, v2
	v_bfe_u32 v9, v2, 20, 11
	v_cndmask_b32_e64 v1, 0, 1, vcc
	v_cmp_ne_u32_e32 vcc, 0, v5
	v_lshrrev_b32_e32 v10, 8, v6
	v_bfe_u32 v11, v6, 20, 11
	v_sub_u32_e32 v12, 0x3f1, v9
	v_cndmask_b32_e64 v5, 0, 1, vcc
	v_and_or_b32 v1, v8, s10, v1
	v_sub_u32_e32 v13, 0x3f1, v11
	v_med3_i32 v8, v12, 0, 13
	v_and_or_b32 v5, v10, s10, v5
	v_or_b32_e32 v12, 0x1000, v1
	v_add_u32_e32 v9, 0xfffffc10, v9
	v_med3_i32 v10, v13, 0, 13
	v_cmp_ne_u32_e32 vcc, 0, v1
	v_or_b32_e32 v14, 0x1000, v5
	v_lshrrev_b32_e32 v16, v8, v12
	v_add_u32_e32 v11, 0xfffffc10, v11
	v_lshl_or_b32 v13, v9, 12, v1
	v_cndmask_b32_e64 v1, 0, 1, vcc
	v_cmp_ne_u32_e32 vcc, 0, v5
	v_lshrrev_b32_e32 v17, v10, v14
	v_lshlrev_b32_e32 v8, v8, v16
	v_lshl_or_b32 v15, v11, 12, v5
	v_cndmask_b32_e64 v5, 0, 1, vcc
	v_lshlrev_b32_e32 v10, v10, v17
	v_cmp_ne_u32_e32 vcc, v8, v12
	v_cndmask_b32_e64 v8, 0, 1, vcc
	v_cmp_ne_u32_e32 vcc, v10, v14
	v_cndmask_b32_e64 v10, 0, 1, vcc
	v_or_b32_e32 v8, v16, v8
	v_cmp_gt_i32_e32 vcc, 1, v9
	v_cndmask_b32_e32 v8, v13, v8, vcc
	v_or_b32_e32 v10, v17, v10
	v_cmp_gt_i32_e32 vcc, 1, v11
	v_and_b32_e32 v12, 7, v8
	v_cndmask_b32_e32 v10, v15, v10, vcc
	v_cmp_lt_i32_e32 vcc, 5, v12
	v_cmp_eq_u32_e64 s[0:1], 3, v12
	v_lshrrev_b32_e32 v8, 2, v8
	v_and_b32_e32 v13, 7, v10
	s_or_b64 vcc, s[0:1], vcc
	v_cmp_lt_i32_e64 s[2:3], 5, v13
	v_cmp_eq_u32_e64 s[4:5], 3, v13
	v_addc_co_u32_e32 v8, vcc, 0, v8, vcc
	v_lshrrev_b32_e32 v10, 2, v10
	s_or_b64 vcc, s[4:5], s[2:3]
	v_addc_co_u32_e32 v10, vcc, 0, v10, vcc
	v_cmp_gt_i32_e32 vcc, 31, v9
	v_cndmask_b32_e32 v8, v0, v8, vcc
	v_cmp_gt_i32_e32 vcc, 31, v11
	v_lshl_or_b32 v1, v1, 9, v0
	v_lshl_or_b32 v5, v5, 9, v0
	v_cndmask_b32_e32 v0, v0, v10, vcc
	v_cmp_eq_u32_e32 vcc, s18, v9
	v_lshrrev_b32_e32 v2, 16, v2
	v_cndmask_b32_e32 v1, v8, v1, vcc
	v_cmp_eq_u32_e32 vcc, s18, v11
	v_lshrrev_b32_e32 v6, 16, v6
	v_cndmask_b32_e32 v0, v0, v5, vcc
	v_and_or_b32 v1, v2, s17, v1
	v_and_or_b32 v0, v6, s17, v0
	v_and_b32_e32 v1, 0xffff, v1
	v_lshl_or_b32 v2, v0, 16, v1
	v_add_co_u32_e32 v0, vcc, s8, v3
	v_addc_co_u32_e32 v1, vcc, v4, v7, vcc
	global_store_dword v[0:1], v2, off
.LBB0_23:
	s_endpgm
	.section	.rodata,"a",@progbits
	.p2align	6, 0x0
	.amdhsa_kernel bluestein_single_fwd_len1122_dim1_half_op_CI_CI
		.amdhsa_group_segment_fixed_size 8976
		.amdhsa_private_segment_fixed_size 0
		.amdhsa_kernarg_size 104
		.amdhsa_user_sgpr_count 6
		.amdhsa_user_sgpr_private_segment_buffer 1
		.amdhsa_user_sgpr_dispatch_ptr 0
		.amdhsa_user_sgpr_queue_ptr 0
		.amdhsa_user_sgpr_kernarg_segment_ptr 1
		.amdhsa_user_sgpr_dispatch_id 0
		.amdhsa_user_sgpr_flat_scratch_init 0
		.amdhsa_user_sgpr_private_segment_size 0
		.amdhsa_uses_dynamic_stack 0
		.amdhsa_system_sgpr_private_segment_wavefront_offset 0
		.amdhsa_system_sgpr_workgroup_id_x 1
		.amdhsa_system_sgpr_workgroup_id_y 0
		.amdhsa_system_sgpr_workgroup_id_z 0
		.amdhsa_system_sgpr_workgroup_info 0
		.amdhsa_system_vgpr_workitem_id 0
		.amdhsa_next_free_vgpr 228
		.amdhsa_next_free_sgpr 45
		.amdhsa_reserve_vcc 1
		.amdhsa_reserve_flat_scratch 0
		.amdhsa_float_round_mode_32 0
		.amdhsa_float_round_mode_16_64 0
		.amdhsa_float_denorm_mode_32 3
		.amdhsa_float_denorm_mode_16_64 3
		.amdhsa_dx10_clamp 1
		.amdhsa_ieee_mode 1
		.amdhsa_fp16_overflow 0
		.amdhsa_exception_fp_ieee_invalid_op 0
		.amdhsa_exception_fp_denorm_src 0
		.amdhsa_exception_fp_ieee_div_zero 0
		.amdhsa_exception_fp_ieee_overflow 0
		.amdhsa_exception_fp_ieee_underflow 0
		.amdhsa_exception_fp_ieee_inexact 0
		.amdhsa_exception_int_div_zero 0
	.end_amdhsa_kernel
	.text
.Lfunc_end0:
	.size	bluestein_single_fwd_len1122_dim1_half_op_CI_CI, .Lfunc_end0-bluestein_single_fwd_len1122_dim1_half_op_CI_CI
                                        ; -- End function
	.section	.AMDGPU.csdata,"",@progbits
; Kernel info:
; codeLenInByte = 29564
; NumSgprs: 49
; NumVgprs: 228
; ScratchSize: 0
; MemoryBound: 0
; FloatMode: 240
; IeeeMode: 1
; LDSByteSize: 8976 bytes/workgroup (compile time only)
; SGPRBlocks: 6
; VGPRBlocks: 56
; NumSGPRsForWavesPerEU: 49
; NumVGPRsForWavesPerEU: 228
; Occupancy: 1
; WaveLimiterHint : 1
; COMPUTE_PGM_RSRC2:SCRATCH_EN: 0
; COMPUTE_PGM_RSRC2:USER_SGPR: 6
; COMPUTE_PGM_RSRC2:TRAP_HANDLER: 0
; COMPUTE_PGM_RSRC2:TGID_X_EN: 1
; COMPUTE_PGM_RSRC2:TGID_Y_EN: 0
; COMPUTE_PGM_RSRC2:TGID_Z_EN: 0
; COMPUTE_PGM_RSRC2:TIDIG_COMP_CNT: 0
	.type	__hip_cuid_7b3db71bbbbee59,@object ; @__hip_cuid_7b3db71bbbbee59
	.section	.bss,"aw",@nobits
	.globl	__hip_cuid_7b3db71bbbbee59
__hip_cuid_7b3db71bbbbee59:
	.byte	0                               ; 0x0
	.size	__hip_cuid_7b3db71bbbbee59, 1

	.ident	"AMD clang version 19.0.0git (https://github.com/RadeonOpenCompute/llvm-project roc-6.4.0 25133 c7fe45cf4b819c5991fe208aaa96edf142730f1d)"
	.section	".note.GNU-stack","",@progbits
	.addrsig
	.addrsig_sym __hip_cuid_7b3db71bbbbee59
	.amdgpu_metadata
---
amdhsa.kernels:
  - .args:
      - .actual_access:  read_only
        .address_space:  global
        .offset:         0
        .size:           8
        .value_kind:     global_buffer
      - .actual_access:  read_only
        .address_space:  global
        .offset:         8
        .size:           8
        .value_kind:     global_buffer
      - .actual_access:  read_only
        .address_space:  global
        .offset:         16
        .size:           8
        .value_kind:     global_buffer
      - .actual_access:  read_only
        .address_space:  global
        .offset:         24
        .size:           8
        .value_kind:     global_buffer
      - .actual_access:  read_only
        .address_space:  global
        .offset:         32
        .size:           8
        .value_kind:     global_buffer
      - .offset:         40
        .size:           8
        .value_kind:     by_value
      - .address_space:  global
        .offset:         48
        .size:           8
        .value_kind:     global_buffer
      - .address_space:  global
        .offset:         56
        .size:           8
        .value_kind:     global_buffer
      - .address_space:  global
        .offset:         64
        .size:           8
        .value_kind:     global_buffer
      - .address_space:  global
        .offset:         72
        .size:           8
        .value_kind:     global_buffer
      - .offset:         80
        .size:           4
        .value_kind:     by_value
      - .address_space:  global
        .offset:         88
        .size:           8
        .value_kind:     global_buffer
      - .address_space:  global
        .offset:         96
        .size:           8
        .value_kind:     global_buffer
    .group_segment_fixed_size: 8976
    .kernarg_segment_align: 8
    .kernarg_segment_size: 104
    .language:       OpenCL C
    .language_version:
      - 2
      - 0
    .max_flat_workgroup_size: 204
    .name:           bluestein_single_fwd_len1122_dim1_half_op_CI_CI
    .private_segment_fixed_size: 0
    .sgpr_count:     49
    .sgpr_spill_count: 0
    .symbol:         bluestein_single_fwd_len1122_dim1_half_op_CI_CI.kd
    .uniform_work_group_size: 1
    .uses_dynamic_stack: false
    .vgpr_count:     228
    .vgpr_spill_count: 0
    .wavefront_size: 64
amdhsa.target:   amdgcn-amd-amdhsa--gfx906
amdhsa.version:
  - 1
  - 2
...

	.end_amdgpu_metadata
